;; amdgpu-corpus repo=ROCm/rocFFT kind=compiled arch=gfx1030 opt=O3
	.text
	.amdgcn_target "amdgcn-amd-amdhsa--gfx1030"
	.amdhsa_code_object_version 6
	.protected	fft_rtc_back_len1352_factors_2_13_13_4_wgs_52_tpt_52_halfLds_sp_ip_CI_unitstride_sbrr_C2R_dirReg ; -- Begin function fft_rtc_back_len1352_factors_2_13_13_4_wgs_52_tpt_52_halfLds_sp_ip_CI_unitstride_sbrr_C2R_dirReg
	.globl	fft_rtc_back_len1352_factors_2_13_13_4_wgs_52_tpt_52_halfLds_sp_ip_CI_unitstride_sbrr_C2R_dirReg
	.p2align	8
	.type	fft_rtc_back_len1352_factors_2_13_13_4_wgs_52_tpt_52_halfLds_sp_ip_CI_unitstride_sbrr_C2R_dirReg,@function
fft_rtc_back_len1352_factors_2_13_13_4_wgs_52_tpt_52_halfLds_sp_ip_CI_unitstride_sbrr_C2R_dirReg: ; @fft_rtc_back_len1352_factors_2_13_13_4_wgs_52_tpt_52_halfLds_sp_ip_CI_unitstride_sbrr_C2R_dirReg
; %bb.0:
	s_clause 0x2
	s_load_dwordx4 s[8:11], s[4:5], 0x0
	s_load_dwordx2 s[2:3], s[4:5], 0x50
	s_load_dwordx2 s[12:13], s[4:5], 0x18
	v_mul_u32_u24_e32 v1, 0x4ed, v0
	v_mov_b32_e32 v3, 0
	v_add_nc_u32_sdwa v5, s6, v1 dst_sel:DWORD dst_unused:UNUSED_PAD src0_sel:DWORD src1_sel:WORD_1
	v_mov_b32_e32 v1, 0
	v_mov_b32_e32 v6, v3
	v_mov_b32_e32 v2, 0
	s_waitcnt lgkmcnt(0)
	v_cmp_lt_u64_e64 s0, s[10:11], 2
	s_and_b32 vcc_lo, exec_lo, s0
	s_cbranch_vccnz .LBB0_8
; %bb.1:
	s_load_dwordx2 s[0:1], s[4:5], 0x10
	v_mov_b32_e32 v1, 0
	s_add_u32 s6, s12, 8
	v_mov_b32_e32 v2, 0
	s_addc_u32 s7, s13, 0
	s_mov_b64 s[16:17], 1
	s_waitcnt lgkmcnt(0)
	s_add_u32 s14, s0, 8
	s_addc_u32 s15, s1, 0
.LBB0_2:                                ; =>This Inner Loop Header: Depth=1
	s_load_dwordx2 s[18:19], s[14:15], 0x0
                                        ; implicit-def: $vgpr7_vgpr8
	s_mov_b32 s0, exec_lo
	s_waitcnt lgkmcnt(0)
	v_or_b32_e32 v4, s19, v6
	v_cmpx_ne_u64_e32 0, v[3:4]
	s_xor_b32 s1, exec_lo, s0
	s_cbranch_execz .LBB0_4
; %bb.3:                                ;   in Loop: Header=BB0_2 Depth=1
	v_cvt_f32_u32_e32 v4, s18
	v_cvt_f32_u32_e32 v7, s19
	s_sub_u32 s0, 0, s18
	s_subb_u32 s20, 0, s19
	v_fmac_f32_e32 v4, 0x4f800000, v7
	v_rcp_f32_e32 v4, v4
	v_mul_f32_e32 v4, 0x5f7ffffc, v4
	v_mul_f32_e32 v7, 0x2f800000, v4
	v_trunc_f32_e32 v7, v7
	v_fmac_f32_e32 v4, 0xcf800000, v7
	v_cvt_u32_f32_e32 v7, v7
	v_cvt_u32_f32_e32 v4, v4
	v_mul_lo_u32 v8, s0, v7
	v_mul_hi_u32 v9, s0, v4
	v_mul_lo_u32 v10, s20, v4
	v_add_nc_u32_e32 v8, v9, v8
	v_mul_lo_u32 v9, s0, v4
	v_add_nc_u32_e32 v8, v8, v10
	v_mul_hi_u32 v10, v4, v9
	v_mul_lo_u32 v11, v4, v8
	v_mul_hi_u32 v12, v4, v8
	v_mul_hi_u32 v13, v7, v9
	v_mul_lo_u32 v9, v7, v9
	v_mul_hi_u32 v14, v7, v8
	v_mul_lo_u32 v8, v7, v8
	v_add_co_u32 v10, vcc_lo, v10, v11
	v_add_co_ci_u32_e32 v11, vcc_lo, 0, v12, vcc_lo
	v_add_co_u32 v9, vcc_lo, v10, v9
	v_add_co_ci_u32_e32 v9, vcc_lo, v11, v13, vcc_lo
	v_add_co_ci_u32_e32 v10, vcc_lo, 0, v14, vcc_lo
	v_add_co_u32 v8, vcc_lo, v9, v8
	v_add_co_ci_u32_e32 v9, vcc_lo, 0, v10, vcc_lo
	v_add_co_u32 v4, vcc_lo, v4, v8
	v_add_co_ci_u32_e32 v7, vcc_lo, v7, v9, vcc_lo
	v_mul_hi_u32 v8, s0, v4
	v_mul_lo_u32 v10, s20, v4
	v_mul_lo_u32 v9, s0, v7
	v_add_nc_u32_e32 v8, v8, v9
	v_mul_lo_u32 v9, s0, v4
	v_add_nc_u32_e32 v8, v8, v10
	v_mul_hi_u32 v10, v4, v9
	v_mul_lo_u32 v11, v4, v8
	v_mul_hi_u32 v12, v4, v8
	v_mul_hi_u32 v13, v7, v9
	v_mul_lo_u32 v9, v7, v9
	v_mul_hi_u32 v14, v7, v8
	v_mul_lo_u32 v8, v7, v8
	v_add_co_u32 v10, vcc_lo, v10, v11
	v_add_co_ci_u32_e32 v11, vcc_lo, 0, v12, vcc_lo
	v_add_co_u32 v9, vcc_lo, v10, v9
	v_add_co_ci_u32_e32 v9, vcc_lo, v11, v13, vcc_lo
	v_add_co_ci_u32_e32 v10, vcc_lo, 0, v14, vcc_lo
	v_add_co_u32 v8, vcc_lo, v9, v8
	v_add_co_ci_u32_e32 v9, vcc_lo, 0, v10, vcc_lo
	v_add_co_u32 v4, vcc_lo, v4, v8
	v_add_co_ci_u32_e32 v11, vcc_lo, v7, v9, vcc_lo
	v_mul_hi_u32 v13, v5, v4
	v_mad_u64_u32 v[9:10], null, v6, v4, 0
	v_mad_u64_u32 v[7:8], null, v5, v11, 0
	;; [unrolled: 1-line block ×3, first 2 shown]
	v_add_co_u32 v4, vcc_lo, v13, v7
	v_add_co_ci_u32_e32 v7, vcc_lo, 0, v8, vcc_lo
	v_add_co_u32 v4, vcc_lo, v4, v9
	v_add_co_ci_u32_e32 v4, vcc_lo, v7, v10, vcc_lo
	v_add_co_ci_u32_e32 v7, vcc_lo, 0, v12, vcc_lo
	v_add_co_u32 v4, vcc_lo, v4, v11
	v_add_co_ci_u32_e32 v9, vcc_lo, 0, v7, vcc_lo
	v_mul_lo_u32 v10, s19, v4
	v_mad_u64_u32 v[7:8], null, s18, v4, 0
	v_mul_lo_u32 v11, s18, v9
	v_sub_co_u32 v7, vcc_lo, v5, v7
	v_add3_u32 v8, v8, v11, v10
	v_sub_nc_u32_e32 v10, v6, v8
	v_subrev_co_ci_u32_e64 v10, s0, s19, v10, vcc_lo
	v_add_co_u32 v11, s0, v4, 2
	v_add_co_ci_u32_e64 v12, s0, 0, v9, s0
	v_sub_co_u32 v13, s0, v7, s18
	v_sub_co_ci_u32_e32 v8, vcc_lo, v6, v8, vcc_lo
	v_subrev_co_ci_u32_e64 v10, s0, 0, v10, s0
	v_cmp_le_u32_e32 vcc_lo, s18, v13
	v_cmp_eq_u32_e64 s0, s19, v8
	v_cndmask_b32_e64 v13, 0, -1, vcc_lo
	v_cmp_le_u32_e32 vcc_lo, s19, v10
	v_cndmask_b32_e64 v14, 0, -1, vcc_lo
	v_cmp_le_u32_e32 vcc_lo, s18, v7
	;; [unrolled: 2-line block ×3, first 2 shown]
	v_cndmask_b32_e64 v15, 0, -1, vcc_lo
	v_cmp_eq_u32_e32 vcc_lo, s19, v10
	v_cndmask_b32_e64 v7, v15, v7, s0
	v_cndmask_b32_e32 v10, v14, v13, vcc_lo
	v_add_co_u32 v13, vcc_lo, v4, 1
	v_add_co_ci_u32_e32 v14, vcc_lo, 0, v9, vcc_lo
	v_cmp_ne_u32_e32 vcc_lo, 0, v10
	v_cndmask_b32_e32 v8, v14, v12, vcc_lo
	v_cndmask_b32_e32 v10, v13, v11, vcc_lo
	v_cmp_ne_u32_e32 vcc_lo, 0, v7
	v_cndmask_b32_e32 v8, v9, v8, vcc_lo
	v_cndmask_b32_e32 v7, v4, v10, vcc_lo
.LBB0_4:                                ;   in Loop: Header=BB0_2 Depth=1
	s_andn2_saveexec_b32 s0, s1
	s_cbranch_execz .LBB0_6
; %bb.5:                                ;   in Loop: Header=BB0_2 Depth=1
	v_cvt_f32_u32_e32 v4, s18
	s_sub_i32 s1, 0, s18
	v_rcp_iflag_f32_e32 v4, v4
	v_mul_f32_e32 v4, 0x4f7ffffe, v4
	v_cvt_u32_f32_e32 v4, v4
	v_mul_lo_u32 v7, s1, v4
	v_mul_hi_u32 v7, v4, v7
	v_add_nc_u32_e32 v4, v4, v7
	v_mul_hi_u32 v4, v5, v4
	v_mul_lo_u32 v7, v4, s18
	v_add_nc_u32_e32 v8, 1, v4
	v_sub_nc_u32_e32 v7, v5, v7
	v_subrev_nc_u32_e32 v9, s18, v7
	v_cmp_le_u32_e32 vcc_lo, s18, v7
	v_cndmask_b32_e32 v7, v7, v9, vcc_lo
	v_cndmask_b32_e32 v4, v4, v8, vcc_lo
	v_cmp_le_u32_e32 vcc_lo, s18, v7
	v_add_nc_u32_e32 v8, 1, v4
	v_cndmask_b32_e32 v7, v4, v8, vcc_lo
	v_mov_b32_e32 v8, v3
.LBB0_6:                                ;   in Loop: Header=BB0_2 Depth=1
	s_or_b32 exec_lo, exec_lo, s0
	s_load_dwordx2 s[0:1], s[6:7], 0x0
	v_mul_lo_u32 v4, v8, s18
	v_mul_lo_u32 v11, v7, s19
	v_mad_u64_u32 v[9:10], null, v7, s18, 0
	s_add_u32 s16, s16, 1
	s_addc_u32 s17, s17, 0
	s_add_u32 s6, s6, 8
	s_addc_u32 s7, s7, 0
	;; [unrolled: 2-line block ×3, first 2 shown]
	v_add3_u32 v4, v10, v11, v4
	v_sub_co_u32 v5, vcc_lo, v5, v9
	v_sub_co_ci_u32_e32 v4, vcc_lo, v6, v4, vcc_lo
	s_waitcnt lgkmcnt(0)
	v_mul_lo_u32 v6, s1, v5
	v_mul_lo_u32 v4, s0, v4
	v_mad_u64_u32 v[1:2], null, s0, v5, v[1:2]
	v_cmp_ge_u64_e64 s0, s[16:17], s[10:11]
	s_and_b32 vcc_lo, exec_lo, s0
	v_add3_u32 v2, v6, v2, v4
	s_cbranch_vccnz .LBB0_9
; %bb.7:                                ;   in Loop: Header=BB0_2 Depth=1
	v_mov_b32_e32 v5, v7
	v_mov_b32_e32 v6, v8
	s_branch .LBB0_2
.LBB0_8:
	v_mov_b32_e32 v8, v6
	v_mov_b32_e32 v7, v5
.LBB0_9:
	s_lshl_b64 s[0:1], s[10:11], 3
	v_mul_hi_u32 v5, 0x4ec4ec5, v0
	s_add_u32 s0, s12, s0
	s_addc_u32 s1, s13, s1
	s_load_dwordx2 s[0:1], s[0:1], 0x0
	s_load_dwordx2 s[4:5], s[4:5], 0x20
	s_waitcnt lgkmcnt(0)
	v_mul_lo_u32 v3, s0, v8
	v_mul_lo_u32 v4, s1, v7
	v_mad_u64_u32 v[1:2], null, s0, v7, v[1:2]
	v_cmp_gt_u64_e32 vcc_lo, s[4:5], v[7:8]
	v_add3_u32 v2, v4, v2, v3
	v_mul_u32_u24_e32 v3, 52, v5
	v_lshlrev_b64 v[98:99], 3, v[1:2]
	v_sub_nc_u32_e32 v96, v0, v3
	s_and_saveexec_b32 s1, vcc_lo
	s_cbranch_execz .LBB0_13
; %bb.10:
	v_mov_b32_e32 v97, 0
	v_add_co_u32 v0, s0, s2, v98
	v_add_co_ci_u32_e64 v1, s0, s3, v99, s0
	v_lshlrev_b64 v[2:3], 3, v[96:97]
	v_or_b32_e32 v24, 0x340, v96
	v_mov_b32_e32 v25, v97
	v_lshl_add_u32 v54, v96, 3, 0
	v_add_co_u32 v2, s0, v0, v2
	v_add_co_ci_u32_e64 v3, s0, v1, v3, s0
	v_lshlrev_b64 v[24:25], 3, v[24:25]
	v_add_co_u32 v4, s0, 0x800, v2
	v_add_co_ci_u32_e64 v5, s0, 0, v3, s0
	v_add_co_u32 v22, s0, 0x1000, v2
	v_add_co_ci_u32_e64 v23, s0, 0, v3, s0
	;; [unrolled: 2-line block ×5, first 2 shown]
	s_clause 0x7
	global_load_dwordx2 v[6:7], v[2:3], off
	global_load_dwordx2 v[8:9], v[2:3], off offset:416
	global_load_dwordx2 v[10:11], v[2:3], off offset:832
	;; [unrolled: 1-line block ×7, first 2 shown]
	v_add_co_u32 v2, s0, 0x2800, v2
	v_add_co_ci_u32_e64 v3, s0, 0, v3, s0
	s_clause 0x11
	global_load_dwordx2 v[26:27], v[4:5], off offset:1280
	global_load_dwordx2 v[4:5], v[4:5], off offset:1696
	;; [unrolled: 1-line block ×10, first 2 shown]
	global_load_dwordx2 v[24:25], v[24:25], off
	global_load_dwordx2 v[32:33], v[32:33], off offset:1760
	global_load_dwordx2 v[46:47], v[44:45], off offset:128
	;; [unrolled: 1-line block ×7, first 2 shown]
	v_cmp_eq_u32_e64 s0, 51, v96
	v_add_nc_u32_e32 v55, 0x400, v54
	v_add_nc_u32_e32 v56, 0x800, v54
	;; [unrolled: 1-line block ×7, first 2 shown]
	s_waitcnt vmcnt(24)
	ds_write2_b64 v54, v[6:7], v[8:9] offset1:52
	s_waitcnt vmcnt(22)
	ds_write2_b64 v54, v[10:11], v[12:13] offset0:104 offset1:156
	s_waitcnt vmcnt(20)
	ds_write2_b64 v55, v[14:15], v[16:17] offset0:80 offset1:132
	;; [unrolled: 2-line block ×12, first 2 shown]
	s_and_saveexec_b32 s4, s0
	s_cbranch_execz .LBB0_12
; %bb.11:
	v_add_co_u32 v0, s0, 0x2800, v0
	v_add_co_ci_u32_e64 v1, s0, 0, v1, s0
	v_mov_b32_e32 v96, 51
	global_load_dwordx2 v[0:1], v[0:1], off offset:576
	s_waitcnt vmcnt(0)
	ds_write_b64 v97, v[0:1] offset:10816
.LBB0_12:
	s_or_b32 exec_lo, exec_lo, s4
.LBB0_13:
	s_or_b32 exec_lo, exec_lo, s1
	v_lshlrev_b32_e32 v0, 3, v96
	s_waitcnt lgkmcnt(0)
	s_barrier
	buffer_gl0_inv
	s_add_u32 s1, s8, 0x2a30
	v_add_nc_u32_e32 v100, 0, v0
	v_sub_nc_u32_e32 v4, 0, v0
	s_addc_u32 s4, s9, 0
	s_mov_b32 s5, exec_lo
                                        ; implicit-def: $vgpr2_vgpr3
	ds_read_b32 v5, v100
	ds_read_b32 v6, v4 offset:10816
	s_waitcnt lgkmcnt(0)
	v_add_f32_e32 v0, v6, v5
	v_sub_f32_e32 v1, v5, v6
	v_cmpx_ne_u32_e32 0, v96
	s_xor_b32 s5, exec_lo, s5
	s_cbranch_execz .LBB0_15
; %bb.14:
	v_mov_b32_e32 v97, 0
	v_add_f32_e32 v7, v6, v5
	v_sub_f32_e32 v8, v5, v6
	v_lshlrev_b64 v[0:1], 3, v[96:97]
	v_add_co_u32 v0, s0, s1, v0
	v_add_co_ci_u32_e64 v1, s0, s4, v1, s0
	global_load_dwordx2 v[2:3], v[0:1], off
	ds_read_b32 v0, v4 offset:10820
	ds_read_b32 v1, v100 offset:4
	s_waitcnt lgkmcnt(0)
	v_add_f32_e32 v9, v0, v1
	v_sub_f32_e32 v0, v1, v0
	s_waitcnt vmcnt(0)
	v_fma_f32 v5, -v8, v3, v7
	v_fma_f32 v6, v9, v3, -v0
	v_fma_f32 v10, v8, v3, v7
	v_fma_f32 v1, v9, v3, v0
	v_fmac_f32_e32 v5, v2, v9
	v_fmac_f32_e32 v6, v8, v2
	v_fma_f32 v0, -v2, v9, v10
	v_fmac_f32_e32 v1, v8, v2
	v_mov_b32_e32 v2, v96
	v_mov_b32_e32 v3, v97
	ds_write_b64 v4, v[5:6] offset:10816
.LBB0_15:
	s_andn2_saveexec_b32 s0, s5
	s_cbranch_execz .LBB0_17
; %bb.16:
	v_mov_b32_e32 v7, 0
	ds_read_b64 v[2:3], v7 offset:5408
	s_waitcnt lgkmcnt(0)
	v_add_f32_e32 v5, v2, v2
	v_mul_f32_e32 v6, -2.0, v3
	v_mov_b32_e32 v2, 0
	v_mov_b32_e32 v3, 0
	ds_write_b64 v7, v[5:6] offset:5408
.LBB0_17:
	s_or_b32 exec_lo, exec_lo, s0
	v_lshlrev_b64 v[2:3], 3, v[2:3]
	v_and_b32_e32 v77, 1, v96
	v_add_nc_u32_e32 v106, 0x1400, v100
	v_add_nc_u32_e32 v101, 0x1800, v100
	;; [unrolled: 1-line block ×4, first 2 shown]
	v_add_co_u32 v2, s0, s1, v2
	v_add_co_ci_u32_e64 v3, s0, s4, v3, s0
	v_add_nc_u32_e32 v97, 0x1000, v100
	v_add_co_u32 v13, s0, 0x800, v2
	s_clause 0x3
	global_load_dwordx2 v[5:6], v[2:3], off offset:416
	global_load_dwordx2 v[7:8], v[2:3], off offset:832
	;; [unrolled: 1-line block ×4, first 2 shown]
	v_add_co_ci_u32_e64 v14, s0, 0, v3, s0
	v_add_co_u32 v2, s0, 0x1000, v2
	s_clause 0x2
	global_load_dwordx2 v[15:16], v[13:14], off offset:32
	global_load_dwordx2 v[17:18], v[13:14], off offset:448
	;; [unrolled: 1-line block ×3, first 2 shown]
	ds_write_b64 v100, v[0:1]
	ds_read_b64 v[0:1], v100 offset:416
	ds_read_b64 v[21:22], v4 offset:10400
	global_load_dwordx2 v[23:24], v[13:14], off offset:1280
	v_add_co_ci_u32_e64 v3, s0, 0, v3, s0
	v_add_nc_u32_e32 v103, 0x2000, v100
	v_add_nc_u32_e32 v107, 0x2400, v100
	;; [unrolled: 1-line block ×3, first 2 shown]
	v_lshl_add_u32 v52, v96, 4, 0
	v_add_nc_u32_e32 v105, 0x138, v96
	v_cmp_gt_u32_e64 s0, 26, v96
	v_lshl_add_u32 v53, v76, 4, 0
	v_add_nc_u32_e32 v54, 0x9c0, v52
	v_add_nc_u32_e32 v55, 0xd00, v52
	;; [unrolled: 1-line block ×3, first 2 shown]
	v_lshl_add_u32 v57, v105, 4, 0
	v_add_nc_u32_e32 v58, 0x16c0, v52
	v_add_nc_u32_e32 v59, 0x1a00, v52
	;; [unrolled: 1-line block ×4, first 2 shown]
	s_waitcnt lgkmcnt(0)
	v_add_f32_e32 v25, v0, v21
	v_add_f32_e32 v26, v22, v1
	v_sub_f32_e32 v27, v0, v21
	v_sub_f32_e32 v0, v1, v22
	v_add_nc_u32_e32 v62, 0x23c0, v52
	v_add_nc_u32_e32 v63, 0x2700, v52
	s_waitcnt vmcnt(7)
	v_fma_f32 v28, v27, v6, v25
	v_fma_f32 v1, v26, v6, v0
	v_fma_f32 v21, -v27, v6, v25
	v_fma_f32 v22, v26, v6, -v0
	v_fma_f32 v0, -v5, v26, v28
	v_fmac_f32_e32 v1, v27, v5
	v_fmac_f32_e32 v21, v5, v26
	v_fmac_f32_e32 v22, v27, v5
	ds_write_b64 v100, v[0:1] offset:416
	ds_write_b64 v4, v[21:22] offset:10400
	ds_read_b64 v[0:1], v100 offset:832
	ds_read_b64 v[5:6], v4 offset:9984
	global_load_dwordx2 v[13:14], v[13:14], off offset:1696
	s_waitcnt lgkmcnt(0)
	v_add_f32_e32 v21, v0, v5
	v_add_f32_e32 v22, v6, v1
	v_sub_f32_e32 v25, v0, v5
	v_sub_f32_e32 v0, v1, v6
	s_waitcnt vmcnt(7)
	v_fma_f32 v26, v25, v8, v21
	v_fma_f32 v1, v22, v8, v0
	v_fma_f32 v5, -v25, v8, v21
	v_fma_f32 v6, v22, v8, -v0
	v_fma_f32 v0, -v7, v22, v26
	v_fmac_f32_e32 v1, v25, v7
	v_fmac_f32_e32 v5, v7, v22
	v_fmac_f32_e32 v6, v25, v7
	ds_write_b64 v100, v[0:1] offset:832
	ds_write_b64 v4, v[5:6] offset:9984
	ds_read_b64 v[0:1], v100 offset:1248
	ds_read_b64 v[5:6], v4 offset:9568
	global_load_dwordx2 v[7:8], v[2:3], off offset:64
	s_waitcnt lgkmcnt(0)
	v_add_f32_e32 v21, v0, v5
	v_add_f32_e32 v22, v6, v1
	v_sub_f32_e32 v25, v0, v5
	v_sub_f32_e32 v0, v1, v6
	;; [unrolled: 19-line block ×4, first 2 shown]
	s_waitcnt vmcnt(7)
	v_fma_f32 v22, v21, v16, v11
	v_fma_f32 v1, v12, v16, v0
	v_fma_f32 v5, -v21, v16, v11
	v_fma_f32 v6, v12, v16, -v0
	v_fma_f32 v0, -v15, v12, v22
	v_fmac_f32_e32 v1, v21, v15
	v_fmac_f32_e32 v5, v15, v12
	v_fmac_f32_e32 v6, v21, v15
	ds_write_b64 v100, v[0:1] offset:2080
	ds_write_b64 v4, v[5:6] offset:8736
	ds_read_b64 v[0:1], v100 offset:2496
	ds_read_b64 v[5:6], v4 offset:8320
	s_waitcnt lgkmcnt(0)
	v_add_f32_e32 v11, v0, v5
	v_add_f32_e32 v12, v6, v1
	v_sub_f32_e32 v15, v0, v5
	v_sub_f32_e32 v0, v1, v6
	s_waitcnt vmcnt(6)
	v_fma_f32 v16, v15, v18, v11
	v_fma_f32 v1, v12, v18, v0
	v_fma_f32 v5, -v15, v18, v11
	v_fma_f32 v6, v12, v18, -v0
	v_fma_f32 v0, -v17, v12, v16
	v_fmac_f32_e32 v1, v15, v17
	v_fmac_f32_e32 v5, v17, v12
	v_fmac_f32_e32 v6, v15, v17
	ds_write_b64 v100, v[0:1] offset:2496
	ds_write_b64 v4, v[5:6] offset:8320
	ds_read_b64 v[0:1], v100 offset:2912
	ds_read_b64 v[5:6], v4 offset:7904
	s_waitcnt lgkmcnt(0)
	v_add_f32_e32 v11, v0, v5
	v_add_f32_e32 v12, v6, v1
	v_sub_f32_e32 v15, v0, v5
	v_sub_f32_e32 v0, v1, v6
	;; [unrolled: 18-line block ×3, first 2 shown]
	s_waitcnt vmcnt(4)
	v_fma_f32 v16, v15, v24, v11
	v_fma_f32 v1, v12, v24, v0
	v_fma_f32 v5, -v15, v24, v11
	v_fma_f32 v6, v12, v24, -v0
	v_mul_u32_u24_e32 v24, 12, v77
	v_fma_f32 v0, -v23, v12, v16
	v_fmac_f32_e32 v1, v15, v23
	v_fmac_f32_e32 v5, v23, v12
	;; [unrolled: 1-line block ×3, first 2 shown]
	ds_write_b64 v100, v[0:1] offset:3328
	ds_write_b64 v4, v[5:6] offset:7488
	ds_read_b64 v[0:1], v100 offset:3744
	ds_read_b64 v[5:6], v4 offset:7072
	v_lshlrev_b32_e32 v64, 3, v24
	s_waitcnt lgkmcnt(0)
	v_add_f32_e32 v11, v0, v5
	v_add_f32_e32 v12, v6, v1
	v_sub_f32_e32 v15, v0, v5
	v_sub_f32_e32 v0, v1, v6
	s_waitcnt vmcnt(3)
	v_fma_f32 v16, v15, v14, v11
	v_fma_f32 v1, v12, v14, v0
	v_fma_f32 v5, -v15, v14, v11
	v_fma_f32 v6, v12, v14, -v0
	v_fma_f32 v0, -v13, v12, v16
	v_fmac_f32_e32 v1, v15, v13
	v_fmac_f32_e32 v5, v13, v12
	v_fmac_f32_e32 v6, v15, v13
	ds_write_b64 v100, v[0:1] offset:3744
	ds_write_b64 v4, v[5:6] offset:7072
	ds_read_b64 v[0:1], v100 offset:4160
	ds_read_b64 v[5:6], v4 offset:6656
	s_waitcnt lgkmcnt(0)
	v_add_f32_e32 v11, v0, v5
	v_add_f32_e32 v12, v6, v1
	v_sub_f32_e32 v13, v0, v5
	v_sub_f32_e32 v0, v1, v6
	s_waitcnt vmcnt(2)
	v_fma_f32 v14, v13, v8, v11
	v_fma_f32 v1, v12, v8, v0
	v_fma_f32 v5, -v13, v8, v11
	v_fma_f32 v6, v12, v8, -v0
	v_fma_f32 v0, -v7, v12, v14
	v_fmac_f32_e32 v1, v13, v7
	v_fmac_f32_e32 v5, v7, v12
	v_fmac_f32_e32 v6, v13, v7
	ds_write_b64 v100, v[0:1] offset:4160
	ds_write_b64 v4, v[5:6] offset:6656
	ds_read_b64 v[0:1], v100 offset:4576
	ds_read_b64 v[5:6], v4 offset:6240
	;; [unrolled: 18-line block ×3, first 2 shown]
	s_waitcnt lgkmcnt(0)
	v_add_f32_e32 v7, v0, v5
	v_add_f32_e32 v8, v6, v1
	v_sub_f32_e32 v9, v0, v5
	v_sub_f32_e32 v0, v1, v6
	s_waitcnt vmcnt(0)
	v_fma_f32 v10, v9, v3, v7
	v_fma_f32 v1, v8, v3, v0
	v_fma_f32 v5, -v9, v3, v7
	v_fma_f32 v6, v8, v3, -v0
	v_fma_f32 v0, -v2, v8, v10
	v_fmac_f32_e32 v1, v9, v2
	v_fmac_f32_e32 v5, v2, v8
	;; [unrolled: 1-line block ×3, first 2 shown]
	ds_write_b64 v100, v[0:1] offset:4992
	ds_write_b64 v4, v[5:6] offset:5824
	s_waitcnt lgkmcnt(0)
	s_barrier
	buffer_gl0_inv
	s_barrier
	buffer_gl0_inv
	ds_read2_b64 v[0:3], v100 offset1:52
	ds_read2_b64 v[4:7], v106 offset0:88 offset1:140
	ds_read2_b64 v[8:11], v100 offset0:104 offset1:156
	;; [unrolled: 1-line block ×12, first 2 shown]
	s_waitcnt lgkmcnt(0)
	s_barrier
	buffer_gl0_inv
	v_sub_f32_e32 v4, v2, v4
	v_sub_f32_e32 v5, v3, v5
	;; [unrolled: 1-line block ×26, first 2 shown]
	v_fma_f32 v2, v2, 2.0, -v4
	v_fma_f32 v3, v3, 2.0, -v5
	;; [unrolled: 1-line block ×26, first 2 shown]
	ds_write2_b64 v53, v[2:3], v[4:5] offset1:1
	ds_write2_b64 v54, v[10:11], v[12:13] offset1:1
	;; [unrolled: 1-line block ×3, first 2 shown]
	ds_write2_b64 v52, v[8:9], v[6:7] offset0:208 offset1:209
	ds_write2_b64 v55, v[16:17], v[14:15] offset1:1
	ds_write2_b64 v56, v[18:19], v[20:21] offset1:1
	ds_write2_b64 v57, v[24:25], v[22:23] offset1:1
	ds_write2_b64 v58, v[26:27], v[32:33] offset1:1
	ds_write2_b64 v59, v[36:37], v[34:35] offset1:1
	ds_write2_b64 v60, v[38:39], v[40:41] offset1:1
	ds_write2_b64 v61, v[44:45], v[42:43] offset1:1
	ds_write2_b64 v62, v[46:47], v[48:49] offset1:1
	ds_write2_b64 v63, v[28:29], v[50:51] offset1:1
	s_waitcnt lgkmcnt(0)
	s_barrier
	buffer_gl0_inv
	s_clause 0x5
	global_load_dwordx4 v[16:19], v64, s[8:9]
	global_load_dwordx4 v[12:15], v64, s[8:9] offset:16
	global_load_dwordx4 v[8:11], v64, s[8:9] offset:32
	;; [unrolled: 1-line block ×5, first 2 shown]
	ds_read2_b64 v[72:75], v100 offset0:104 offset1:156
	ds_read2_b64 v[68:71], v102 offset0:80 offset1:132
	;; [unrolled: 1-line block ×12, first 2 shown]
	ds_read2_b64 v[0:3], v100 offset1:52
	s_waitcnt vmcnt(0) lgkmcnt(0)
	s_barrier
	buffer_gl0_inv
	v_mul_f32_e32 v91, v17, v73
	v_mul_f32_e32 v92, v17, v72
	v_mul_f32_e32 v94, v74, v17
	v_mul_f32_e32 v90, v65, v13
	v_mul_f32_e32 v109, v64, v13
	v_mul_f32_e32 v85, v67, v13
	v_mul_f32_e32 v110, v66, v13
	v_mul_f32_e32 v81, v49, v5
	v_mul_f32_e32 v118, v48, v5
	v_mul_f32_e32 v80, v51, v5
	v_mul_f32_e32 v119, v50, v5
	v_mul_f32_e32 v129, v40, v27
	v_mul_f32_e32 v130, v42, v27
	v_mul_f32_e32 v93, v75, v17
	v_mul_f32_e32 v95, v19, v68
	v_mul_f32_e32 v89, v61, v15
	v_mul_f32_e32 v111, v60, v15
	v_mul_f32_e32 v84, v63, v15
	v_mul_f32_e32 v112, v62, v15
	v_mul_f32_e32 v86, v53, v11
	v_mul_f32_e32 v115, v52, v11
	v_mul_f32_e32 v82, v55, v11
	v_mul_f32_e32 v117, v54, v11
	v_mul_f32_e32 v79, v45, v7
	v_mul_f32_e32 v121, v44, v7
	v_mul_f32_e32 v78, v47, v7
	v_mul_f32_e32 v122, v46, v7
	v_mul_f32_e32 v15, v33, v23
	v_mul_f32_e32 v125, v32, v23
	v_mul_f32_e32 v7, v35, v23
	v_mul_f32_e32 v126, v34, v23
	v_mul_f32_e32 v13, v29, v25
	v_mul_f32_e32 v127, v28, v25
	v_mul_f32_e32 v5, v31, v25
	v_mul_f32_e32 v128, v30, v25
	v_mul_f32_e32 v17, v41, v27
	v_mul_f32_e32 v11, v43, v27
	v_fmac_f32_e32 v91, v16, v72
	v_fma_f32 v72, v16, v73, -v92
	v_fma_f32 v73, v75, v16, -v94
	v_fmac_f32_e32 v90, v64, v12
	v_fma_f32 v65, v65, v12, -v109
	v_fmac_f32_e32 v85, v66, v12
	;; [unrolled: 2-line block ×4, first 2 shown]
	v_fma_f32 v25, v51, v4, -v119
	v_fma_f32 v12, v41, v26, -v129
	;; [unrolled: 1-line block ×3, first 2 shown]
	v_mul_f32_e32 v113, v19, v69
	v_mul_f32_e32 v87, v71, v19
	;; [unrolled: 1-line block ×11, first 2 shown]
	v_fmac_f32_e32 v93, v74, v16
	v_fma_f32 v120, v18, v69, -v95
	v_fmac_f32_e32 v89, v60, v14
	v_fma_f32 v61, v61, v14, -v111
	;; [unrolled: 2-line block ×8, first 2 shown]
	v_fmac_f32_e32 v17, v40, v26
	v_fmac_f32_e32 v11, v42, v26
	v_add_f32_e32 v22, v72, v12
	v_sub_f32_e32 v28, v73, v4
	v_add_f32_e32 v29, v73, v4
	v_fmac_f32_e32 v113, v18, v68
	v_fmac_f32_e32 v87, v70, v18
	v_fma_f32 v68, v71, v18, -v108
	v_fmac_f32_e32 v88, v56, v8
	v_fma_f32 v57, v57, v8, -v114
	v_fma_f32 v56, v59, v8, -v116
	v_fmac_f32_e32 v86, v52, v10
	v_fma_f32 v53, v53, v10, -v115
	v_fmac_f32_e32 v82, v54, v10
	;; [unrolled: 2-line block ×4, first 2 shown]
	v_fma_f32 v10, v39, v20, -v124
	v_sub_f32_e32 v20, v72, v12
	v_sub_f32_e32 v55, v91, v17
	v_add_f32_e32 v49, v93, v11
	v_sub_f32_e32 v39, v93, v11
	v_add_f32_e32 v122, v91, v0
	v_add_f32_e32 v123, v72, v1
	;; [unrolled: 1-line block ×4, first 2 shown]
	v_sub_f32_e32 v111, v65, v16
	v_add_f32_e32 v110, v65, v16
	v_mul_f32_e32 v54, 0x3f62ad3f, v22
	v_mul_f32_e32 v51, 0x3f116cb1, v22
	;; [unrolled: 1-line block ×13, first 2 shown]
	v_fmac_f32_e32 v83, v58, v8
	v_fmac_f32_e32 v5, v30, v24
	v_fma_f32 v8, v31, v24, -v128
	v_add_f32_e32 v58, v91, v17
	v_add_f32_e32 v24, v93, v2
	v_sub_f32_e32 v115, v120, v14
	v_add_f32_e32 v42, v113, v13
	v_sub_f32_e32 v45, v113, v13
	v_sub_f32_e32 v40, v90, v15
	;; [unrolled: 1-line block ×3, first 2 shown]
	v_mul_f32_e32 v93, 0xbf52af12, v20
	v_mul_f32_e32 v91, 0xbf6f5d39, v20
	;; [unrolled: 1-line block ×16, first 2 shown]
	v_add_f32_e32 v122, v122, v113
	v_add_f32_e32 v120, v123, v120
	v_mul_f32_e32 v156, 0xbf3f9e67, v116
	v_mul_f32_e32 v157, 0x3df6dbef, v116
	;; [unrolled: 1-line block ×9, first 2 shown]
	v_fmamk_f32 v165, v55, 0x3eedf032, v54
	v_fmac_f32_e32 v54, 0xbeedf032, v55
	v_fmamk_f32 v166, v55, 0x3f52af12, v51
	v_fmac_f32_e32 v51, 0xbf52af12, v55
	;; [unrolled: 2-line block ×6, first 2 shown]
	v_fmamk_f32 v171, v49, 0x3f62ad3f, v73
	v_fma_f32 v73, 0x3f62ad3f, v49, -v73
	v_fmamk_f32 v172, v49, 0x3f116cb1, v72
	v_fma_f32 v72, 0x3f116cb1, v49, -v72
	;; [unrolled: 2-line block ×6, first 2 shown]
	v_fmamk_f32 v181, v39, 0x3f6f5d39, v37
	v_fmac_f32_e32 v37, 0xbf6f5d39, v39
	v_sub_f32_e32 v109, v61, v18
	v_add_f32_e32 v108, v61, v18
	v_add_f32_e32 v32, v88, v79
	v_mul_f32_e32 v94, 0xbeedf032, v20
	v_mul_f32_e32 v92, 0xbf7e222b, v20
	;; [unrolled: 1-line block ×6, first 2 shown]
	v_fmamk_f32 v145, v58, 0x3f116cb1, v93
	v_fma_f32 v93, 0x3f116cb1, v58, -v93
	v_fmamk_f32 v162, v58, 0xbeb58ec6, v91
	v_fma_f32 v91, 0xbeb58ec6, v58, -v91
	v_fmamk_f32 v178, v39, 0x3eedf032, v47
	v_fmac_f32_e32 v47, 0xbeedf032, v39
	v_fmamk_f32 v179, v39, 0x3f52af12, v44
	v_fmac_f32_e32 v44, 0xbf52af12, v39
	;; [unrolled: 2-line block ×5, first 2 shown]
	v_fmamk_f32 v187, v40, 0x3e750f2a, v28
	v_fmamk_f32 v191, v40, 0xbf6f5d39, v29
	;; [unrolled: 1-line block ×3, first 2 shown]
	v_fmac_f32_e32 v112, 0xbf7e222b, v40
	v_fmac_f32_e32 v28, 0xbe750f2a, v40
	;; [unrolled: 1-line block ×3, first 2 shown]
	v_fmamk_f32 v155, v40, 0xbeedf032, v123
	v_fmac_f32_e32 v123, 0x3eedf032, v40
	v_fmamk_f32 v151, v40, 0x3f52af12, v113
	v_fmac_f32_e32 v113, 0xbf52af12, v40
	;; [unrolled: 2-line block ×3, first 2 shown]
	v_add_f32_e32 v165, v165, v1
	v_add_f32_e32 v215, v54, v1
	v_add_f32_e32 v166, v166, v1
	v_add_f32_e32 v218, v51, v1
	v_add_f32_e32 v167, v167, v1
	v_add_f32_e32 v220, v50, v1
	v_add_f32_e32 v168, v168, v1
	v_add_f32_e32 v222, v48, v1
	v_add_f32_e32 v169, v169, v1
	v_add_f32_e32 v224, v46, v1
	v_add_f32_e32 v170, v170, v1
	v_add_f32_e32 v226, v41, v1
	v_add_f32_e32 v171, v171, v2
	v_add_f32_e32 v227, v73, v2
	v_add_f32_e32 v172, v172, v2
	v_add_f32_e32 v229, v72, v2
	v_add_f32_e32 v173, v173, v2
	v_add_f32_e32 v231, v71, v2
	v_add_f32_e32 v174, v174, v2
	v_add_f32_e32 v233, v70, v2
	v_add_f32_e32 v234, v37, v3
	v_add_f32_e32 v40, v175, v2
	v_add_f32_e32 v39, v69, v2
	v_add_f32_e32 v37, v176, v2
	v_add_f32_e32 v1, v177, v2
	v_add_f32_e32 v2, v57, v23
	v_add_f32_e32 v43, v90, v15
	v_add_f32_e32 v34, v89, v19
	v_sub_f32_e32 v33, v89, v19
	v_mul_f32_e32 v66, 0x3f29c268, v109
	v_mul_f32_e32 v20, 0xbf3f9e67, v108
	;; [unrolled: 1-line block ×20, first 2 shown]
	v_fmamk_f32 v143, v58, 0x3f62ad3f, v94
	v_fma_f32 v94, 0x3f62ad3f, v58, -v94
	v_fmamk_f32 v161, v58, 0x3df6dbef, v92
	v_fma_f32 v92, 0x3df6dbef, v58, -v92
	;; [unrolled: 2-line block ×4, first 2 shown]
	v_fmamk_f32 v184, v42, 0xbeb58ec6, v62
	v_fmamk_f32 v49, v32, 0x3df6dbef, v114
	v_fma_f32 v198, 0xbeb58ec6, v42, -v62
	v_fma_f32 v62, 0x3df6dbef, v32, -v114
	v_add_f32_e32 v217, v93, v0
	v_add_f32_e32 v221, v91, v0
	v_mul_f32_e32 v93, 0x3df6dbef, v2
	v_mul_f32_e32 v91, 0x3f116cb1, v2
	;; [unrolled: 1-line block ×6, first 2 shown]
	v_sub_f32_e32 v2, v88, v79
	v_mul_f32_e32 v117, 0xbe750f2a, v115
	v_mul_f32_e32 v115, 0x3eedf032, v115
	v_fmamk_f32 v186, v43, 0xbf788fa5, v63
	v_fmamk_f32 v126, v33, 0xbf29c268, v20
	;; [unrolled: 1-line block ×8, first 2 shown]
	v_fma_f32 v196, 0x3f116cb1, v42, -v124
	v_fma_f32 v197, 0x3df6dbef, v43, -v125
	v_fmac_f32_e32 v31, 0xbf6f5d39, v33
	v_fma_f32 v199, 0xbf788fa5, v43, -v63
	v_fmac_f32_e32 v20, 0x3f29c268, v33
	;; [unrolled: 2-line block ×3, first 2 shown]
	v_fma_f32 v63, 0x3f116cb1, v32, -v121
	v_fmamk_f32 v204, v42, 0xbf3f9e67, v137
	v_fma_f32 v206, 0xbf3f9e67, v42, -v137
	v_fmamk_f32 v207, v42, 0x3df6dbef, v138
	;; [unrolled: 2-line block ×6, first 2 shown]
	v_fma_f32 v137, 0x3df6dbef, v34, -v141
	v_add_f32_e32 v213, v143, v0
	v_add_f32_e32 v214, v94, v0
	;; [unrolled: 1-line block ×11, first 2 shown]
	v_fmamk_f32 v140, v34, 0x3f116cb1, v144
	v_fma_f32 v139, 0x3f116cb1, v34, -v144
	v_fmamk_f32 v145, v33, 0x3f7e222b, v110
	v_fmac_f32_e32 v110, 0xbf7e222b, v33
	v_fmamk_f32 v144, v33, 0xbe750f2a, v109
	v_fmac_f32_e32 v109, 0x3e750f2a, v33
	;; [unrolled: 2-line block ×3, first 2 shown]
	v_fmamk_f32 v33, v32, 0xbeb58ec6, v95
	v_fma_f32 v35, 0xbeb58ec6, v32, -v95
	v_fmamk_f32 v121, v2, 0x3f29c268, v114
	v_fmac_f32_e32 v114, 0xbf29c268, v2
	v_fmamk_f32 v124, v2, 0xbf7e222b, v93
	v_fmac_f32_e32 v93, 0x3f7e222b, v2
	;; [unrolled: 2-line block ×6, first 2 shown]
	v_sub_f32_e32 v2, v53, v27
	v_fmamk_f32 v129, v34, 0xbf3f9e67, v66
	v_fmamk_f32 v188, v42, 0xbf788fa5, v117
	;; [unrolled: 1-line block ×5, first 2 shown]
	v_fma_f32 v134, 0xbeb58ec6, v34, -v127
	v_fma_f32 v67, 0xbf3f9e67, v32, -v128
	;; [unrolled: 1-line block ×5, first 2 shown]
	v_fmamk_f32 v209, v42, 0x3f62ad3f, v115
	v_fma_f32 v210, 0x3f62ad3f, v42, -v115
	v_add_f32_e32 v178, v178, v3
	v_add_f32_e32 v228, v47, v3
	;; [unrolled: 1-line block ×10, first 2 shown]
	v_fmamk_f32 v143, v34, 0xbf788fa5, v142
	v_fma_f32 v142, 0xbf788fa5, v34, -v142
	v_fmamk_f32 v48, v32, 0xbf788fa5, v159
	v_fma_f32 v46, 0xbf788fa5, v32, -v159
	;; [unrolled: 2-line block ×3, first 2 shown]
	v_mul_f32_e32 v3, 0x3eedf032, v2
	v_mul_f32_e32 v32, 0xbf29c268, v2
	;; [unrolled: 1-line block ×6, first 2 shown]
	v_add_f32_e32 v72, v86, v81
	v_add_f32_e32 v203, v120, v65
	v_fmamk_f32 v185, v45, 0x3f6f5d39, v30
	v_fmamk_f32 v189, v45, 0x3e750f2a, v59
	;; [unrolled: 1-line block ×4, first 2 shown]
	v_fma_f32 v66, 0xbf3f9e67, v72, -v32
	v_fmamk_f32 v50, v72, 0x3f116cb1, v43
	v_fma_f32 v47, 0x3f116cb1, v72, -v43
	v_fmamk_f32 v32, v72, 0x3df6dbef, v2
	v_fma_f32 v43, 0x3df6dbef, v72, -v2
	v_add_f32_e32 v2, v53, v27
	v_fmac_f32_e32 v152, 0xbf52af12, v45
	v_fmac_f32_e32 v30, 0xbf6f5d39, v45
	v_add_f32_e32 v200, v122, v90
	v_fmac_f32_e32 v59, 0xbe750f2a, v45
	v_fmamk_f32 v205, v45, 0xbf29c268, v156
	v_fmac_f32_e32 v156, 0x3f29c268, v45
	v_fmamk_f32 v211, v45, 0xbf7e222b, v157
	;; [unrolled: 2-line block ×4, first 2 shown]
	v_fma_f32 v54, 0xbf788fa5, v72, -v42
	v_fmamk_f32 v74, v72, 0x3f62ad3f, v3
	v_fma_f32 v65, 0x3f62ad3f, v72, -v3
	v_fmamk_f32 v45, v72, 0xbeb58ec6, v70
	v_fma_f32 v42, 0xbeb58ec6, v72, -v70
	v_mul_f32_e32 v94, 0x3f62ad3f, v2
	v_mul_f32_e32 v92, 0xbf3f9e67, v2
	;; [unrolled: 1-line block ×6, first 2 shown]
	v_sub_f32_e32 v2, v86, v81
	v_add_f32_e32 v3, v203, v61
	v_add_f32_e32 v61, v184, v216
	;; [unrolled: 1-line block ×4, first 2 shown]
	v_fmamk_f32 v122, v2, 0x3e750f2a, v115
	v_fmac_f32_e32 v115, 0xbe750f2a, v2
	v_fmamk_f32 v127, v2, 0xbeedf032, v94
	v_fmac_f32_e32 v94, 0x3eedf032, v2
	v_fmamk_f32 v128, v2, 0x3f29c268, v92
	v_fmac_f32_e32 v92, 0xbf29c268, v2
	v_fmamk_f32 v120, v2, 0xbf52af12, v90
	v_fmac_f32_e32 v90, 0x3f52af12, v2
	v_fmamk_f32 v119, v2, 0x3f6f5d39, v72
	v_fmac_f32_e32 v72, 0xbf6f5d39, v2
	v_fmamk_f32 v117, v2, 0xbf7e222b, v70
	v_fmac_f32_e32 v70, 0x3f7e222b, v2
	v_add_f32_e32 v2, v200, v89
	v_add_f32_e32 v57, v3, v57
	v_sub_f32_e32 v3, v68, v8
	v_add_f32_e32 v89, v185, v166
	v_add_f32_e32 v185, v26, v68
	;; [unrolled: 1-line block ×4, first 2 shown]
	v_mul_f32_e32 v184, 0xbf52af12, v3
	v_sub_f32_e32 v26, v87, v5
	v_add_f32_e32 v160, v189, v167
	v_add_f32_e32 v161, v192, v213
	;; [unrolled: 1-line block ×3, first 2 shown]
	v_fmamk_f32 v30, v2, 0x3f116cb1, v184
	v_add_f32_e32 v165, v193, v165
	v_add_f32_e32 v152, v152, v215
	;; [unrolled: 1-line block ×10, first 2 shown]
	v_mul_f32_e32 v24, 0x3f116cb1, v30
	v_add_f32_e32 v59, v88, v86
	v_sub_f32_e32 v86, v64, v6
	v_add_f32_e32 v53, v57, v53
	v_add_f32_e32 v57, v185, v64
	v_fmamk_f32 v87, v26, 0x3f52af12, v24
	v_fmac_f32_e32 v24, 0xbf52af12, v26
	v_add_f32_e32 v88, v64, v6
	v_add_f32_e32 v64, v68, v85
	;; [unrolled: 1-line block ×4, first 2 shown]
	v_fma_f32 v178, 0x3f116cb1, v2, -v184
	v_add_f32_e32 v184, v24, v228
	v_mul_f32_e32 v24, 0xbf6f5d39, v3
	v_add_f32_e32 v177, v206, v221
	v_add_f32_e32 v164, v209, v164
	;; [unrolled: 1-line block ×4, first 2 shown]
	v_fmamk_f32 v188, v2, 0xbeb58ec6, v24
	v_fma_f32 v24, 0xbeb58ec6, v2, -v24
	v_add_f32_e32 v152, v199, v167
	v_add_f32_e32 v167, v28, v175
	;; [unrolled: 1-line block ×4, first 2 shown]
	v_mul_f32_e32 v188, 0xbeb58ec6, v30
	v_add_f32_e32 v68, v154, v162
	v_sub_f32_e32 v154, v60, v10
	v_add_f32_e32 v155, v155, v168
	v_add_f32_e32 v57, v57, v60
	v_fmamk_f32 v189, v26, 0x3f6f5d39, v188
	v_add_f32_e32 v168, v60, v10
	v_add_f32_e32 v60, v64, v84
	;; [unrolled: 1-line block ×3, first 2 shown]
	v_mul_f32_e32 v169, 0xbf7e222b, v86
	v_add_f32_e32 v179, v189, v179
	v_add_f32_e32 v189, v24, v229
	v_mul_f32_e32 v24, 0xbe750f2a, v3
	v_add_f32_e32 v166, v196, v214
	v_add_f32_e32 v157, v157, v224
	;; [unrolled: 1-line block ×4, first 2 shown]
	v_fmamk_f32 v192, v2, 0xbf788fa5, v24
	v_fma_f32 v24, 0xbf788fa5, v2, -v24
	v_add_f32_e32 v175, v202, v176
	v_sub_f32_e32 v85, v85, v7
	v_add_f32_e32 v64, v153, v177
	v_add_f32_e32 v173, v192, v173
	v_mul_f32_e32 v192, 0xbf788fa5, v30
	v_sub_f32_e32 v153, v56, v21
	v_add_f32_e32 v57, v57, v56
	v_add_f32_e32 v176, v56, v21
	;; [unrolled: 1-line block ×3, first 2 shown]
	v_fmamk_f32 v193, v26, 0x3e750f2a, v192
	v_add_f32_e32 v147, v147, v164
	v_mul_f32_e32 v164, 0x3df6dbef, v88
	v_add_f32_e32 v149, v149, v170
	v_fmamk_f32 v170, v28, 0x3df6dbef, v169
	v_add_f32_e32 v180, v193, v180
	v_add_f32_e32 v193, v24, v231
	v_mul_f32_e32 v24, 0x3f29c268, v3
	v_add_f32_e32 v182, v208, v223
	v_add_f32_e32 v178, v178, v227
	;; [unrolled: 1-line block ×3, first 2 shown]
	v_mul_f32_e32 v177, 0xbe750f2a, v86
	v_fmamk_f32 v196, v2, 0xbf3f9e67, v24
	v_add_f32_e32 v111, v111, v158
	v_fmamk_f32 v158, v85, 0x3f7e222b, v164
	v_fma_f32 v169, 0x3df6dbef, v28, -v169
	v_add_f32_e32 v170, v170, v171
	v_add_f32_e32 v174, v196, v174
	v_mul_f32_e32 v196, 0xbf3f9e67, v30
	v_mul_f32_e32 v171, 0xbf788fa5, v88
	v_add_f32_e32 v56, v56, v82
	v_add_f32_e32 v133, v133, v161
	;; [unrolled: 1-line block ×5, first 2 shown]
	v_fmamk_f32 v198, v26, 0xbf29c268, v196
	v_fma_f32 v24, 0xbf3f9e67, v2, -v24
	v_add_f32_e32 v148, v148, v182
	v_sub_f32_e32 v157, v52, v25
	v_add_f32_e32 v87, v158, v87
	v_fmamk_f32 v158, v28, 0xbf788fa5, v177
	v_add_f32_e32 v169, v169, v178
	v_mul_f32_e32 v178, 0x3f6f5d39, v86
	v_fmamk_f32 v182, v85, 0x3e750f2a, v171
	v_add_f32_e32 v185, v52, v25
	v_add_f32_e32 v52, v57, v52
	;; [unrolled: 1-line block ×13, first 2 shown]
	v_lshrrev_b32_e32 v24, 1, v96
	v_add_f32_e32 v123, v123, v156
	v_add_f32_e32 v156, v83, v78
	v_sub_f32_e32 v83, v83, v78
	v_fmac_f32_e32 v164, 0xbf7e222b, v85
	v_add_f32_e32 v158, v158, v172
	v_mul_f32_e32 v172, 0xbeb58ec6, v88
	v_add_f32_e32 v179, v182, v179
	v_fmamk_f32 v182, v28, 0xbeb58ec6, v178
	v_add_f32_e32 v25, v52, v25
	v_add_f32_e32 v71, v71, v109
	;; [unrolled: 1-line block ×8, first 2 shown]
	v_fmac_f32_e32 v196, 0x3f29c268, v26
	v_add_f32_e32 v61, v186, v61
	v_mul_u32_u24_e32 v24, 26, v24
	v_add_f32_e32 v162, v84, v9
	v_sub_f32_e32 v84, v84, v9
	v_add_f32_e32 v146, v146, v183
	v_add_f32_e32 v164, v164, v184
	v_mul_f32_e32 v183, 0x3eedf032, v86
	v_fmamk_f32 v184, v85, 0xbf6f5d39, v172
	v_add_f32_e32 v173, v182, v173
	v_mul_f32_e32 v182, 0x3f62ad3f, v88
	v_add_f32_e32 v89, v126, v89
	v_add_f32_e32 v131, v131, v165
	;; [unrolled: 1-line block ×9, first 2 shown]
	v_or_b32_e32 v24, v24, v77
	v_add_f32_e32 v60, v150, v163
	v_add_f32_e32 v150, v82, v80
	v_sub_f32_e32 v163, v82, v80
	v_fma_f32 v178, 0xbeb58ec6, v28, -v178
	v_add_f32_e32 v180, v184, v180
	v_fmamk_f32 v184, v28, 0x3f62ad3f, v183
	v_fmamk_f32 v186, v85, 0xbeedf032, v182
	v_fma_f32 v183, 0x3f62ad3f, v28, -v183
	v_fmac_f32_e32 v182, 0x3eedf032, v85
	v_mul_f32_e32 v82, 0x3eedf032, v154
	v_add_f32_e32 v61, v129, v61
	v_mul_f32_e32 v129, 0xbf7e222b, v154
	v_mul_f32_e32 v126, 0x3df6dbef, v168
	v_add_f32_e32 v64, v137, v64
	v_add_f32_e32 v110, v110, v123
	;; [unrolled: 1-line block ×9, first 2 shown]
	v_lshl_add_u32 v24, v24, 3, 0
	v_add_f32_e32 v178, v178, v193
	v_add_f32_e32 v183, v183, v198
	;; [unrolled: 1-line block ×6, first 2 shown]
	v_mul_f32_e32 v138, 0x3e750f2a, v153
	v_add_f32_e32 v68, v145, v155
	v_mul_f32_e32 v145, 0xbf788fa5, v176
	v_fmamk_f32 v147, v162, 0x3f62ad3f, v82
	v_fma_f32 v82, 0x3f62ad3f, v162, -v82
	v_add_f32_e32 v139, v139, v146
	v_fmamk_f32 v146, v162, 0x3df6dbef, v129
	v_add_f32_e32 v108, v108, v111
	v_fmamk_f32 v111, v84, 0x3f7e222b, v126
	v_fma_f32 v129, 0x3df6dbef, v162, -v129
	v_fmac_f32_e32 v126, 0xbf7e222b, v84
	v_add_f32_e32 v46, v46, v64
	v_add_f32_e32 v64, v73, v110
	;; [unrolled: 1-line block ×11, first 2 shown]
	v_fmamk_f32 v178, v83, 0xbe750f2a, v145
	v_add_f32_e32 v49, v49, v61
	v_add_f32_e32 v55, v55, v132
	;; [unrolled: 1-line block ×4, first 2 shown]
	ds_write2_b64 v24, v[6:7], v[33:34] offset1:2
	v_add_f32_e32 v5, v5, v11
	v_add_f32_e32 v7, v129, v183
	;; [unrolled: 1-line block ×3, first 2 shown]
	v_fma_f32 v12, 0xbf788fa5, v156, -v138
	v_fmac_f32_e32 v145, 0x3e750f2a, v83
	v_mul_f32_e32 v13, 0x3f7e222b, v3
	v_mul_f32_e32 v14, 0x3df6dbef, v30
	v_add_f32_e32 v93, v93, v20
	v_add_f32_e32 v91, v91, v22
	;; [unrolled: 1-line block ×9, first 2 shown]
	v_fmamk_f32 v7, v2, 0x3df6dbef, v13
	v_fmamk_f32 v11, v26, 0xbf7e222b, v14
	v_mul_f32_e32 v12, 0xbf52af12, v86
	v_mul_f32_e32 v15, 0x3f116cb1, v88
	;; [unrolled: 1-line block ×3, first 2 shown]
	ds_write2_b64 v24, v[20:21], v[22:23] offset0:4 offset1:6
	v_add_f32_e32 v7, v7, v40
	v_add_f32_e32 v11, v11, v41
	v_fmamk_f32 v17, v28, 0x3f116cb1, v12
	v_fmamk_f32 v20, v85, 0x3f52af12, v15
	v_mul_f32_e32 v21, 0x3e750f2a, v154
	v_mul_f32_e32 v22, 0xbf788fa5, v168
	v_fma_f32 v16, 0x3f116cb1, v150, -v137
	v_add_f32_e32 v17, v17, v7
	v_add_f32_e32 v11, v20, v11
	v_fmamk_f32 v20, v162, 0xbf788fa5, v21
	v_mul_f32_e32 v23, 0x3eedf032, v153
	v_fmamk_f32 v25, v84, 0xbe750f2a, v22
	v_mul_f32_e32 v27, 0x3f62ad3f, v176
	v_add_f32_e32 v7, v16, v4
	v_add_f32_e32 v4, v20, v17
	v_fmamk_f32 v16, v156, 0x3f62ad3f, v23
	v_add_f32_e32 v11, v25, v11
	v_fmamk_f32 v17, v83, 0xbeedf032, v27
	v_fma_f32 v13, 0x3df6dbef, v2, -v13
	v_fmac_f32_e32 v192, 0xbe750f2a, v26
	v_add_f32_e32 v4, v16, v4
	v_mul_f32_e32 v16, 0xbf6f5d39, v157
	v_add_f32_e32 v17, v17, v11
	v_fmac_f32_e32 v14, 0x3f7e222b, v26
	v_add_f32_e32 v11, v13, v39
	v_fma_f32 v12, 0x3f116cb1, v28, -v12
	v_add_f32_e32 v192, v192, v232
	v_fmac_f32_e32 v172, 0x3f6f5d39, v85
	v_mul_f32_e32 v57, 0x3f62ad3f, v168
	v_fmamk_f32 v13, v150, 0xbeb58ec6, v16
	v_mul_f32_e32 v20, 0xbeb58ec6, v185
	v_add_f32_e32 v14, v14, v38
	v_fmac_f32_e32 v15, 0xbf52af12, v85
	v_add_f32_e32 v12, v12, v11
	v_fma_f32 v21, 0xbf788fa5, v162, -v21
	v_fma_f32 v177, 0xbf788fa5, v28, -v177
	v_add_f32_e32 v172, v172, v192
	v_add_f32_e32 v174, v184, v174
	v_mul_f32_e32 v184, 0xbf6f5d39, v154
	v_mul_f32_e32 v187, 0x3f29c268, v154
	;; [unrolled: 1-line block ×3, first 2 shown]
	v_add_f32_e32 v141, v141, v149
	v_fmamk_f32 v149, v84, 0xbeedf032, v57
	v_fmac_f32_e32 v57, 0x3eedf032, v84
	v_add_f32_e32 v11, v13, v4
	v_fmamk_f32 v4, v163, 0x3f6f5d39, v20
	v_add_f32_e32 v13, v15, v14
	v_fmac_f32_e32 v22, 0x3e750f2a, v84
	v_add_f32_e32 v14, v21, v12
	v_fma_f32 v15, 0x3f62ad3f, v156, -v23
	v_mul_f32_e32 v21, 0x3eedf032, v3
	v_add_f32_e32 v177, v177, v189
	v_add_f32_e32 v181, v186, v181
	v_mul_f32_e32 v189, 0xbf3f9e67, v185
	v_add_f32_e32 v60, v143, v60
	v_fmamk_f32 v143, v162, 0xbeb58ec6, v184
	v_fma_f32 v155, 0xbeb58ec6, v162, -v184
	v_fmamk_f32 v148, v162, 0xbf3f9e67, v187
	v_fma_f32 v184, 0xbf3f9e67, v162, -v187
	v_fmamk_f32 v187, v83, 0x3f52af12, v29
	v_fmac_f32_e32 v29, 0xbf52af12, v83
	v_add_f32_e32 v57, v57, v172
	v_add_f32_e32 v12, v4, v17
	;; [unrolled: 1-line block ×3, first 2 shown]
	v_fmac_f32_e32 v27, 0x3eedf032, v83
	v_add_f32_e32 v4, v15, v14
	v_fmamk_f32 v13, v2, 0x3f62ad3f, v21
	v_mul_f32_e32 v14, 0x3f62ad3f, v30
	v_mul_f32_e32 v15, 0xbf29c268, v86
	v_add_f32_e32 v111, v111, v181
	v_fmamk_f32 v181, v163, 0x3f29c268, v189
	v_fmac_f32_e32 v189, 0xbf29c268, v163
	v_add_f32_e32 v68, v118, v68
	v_add_f32_e32 v29, v29, v57
	;; [unrolled: 1-line block ×3, first 2 shown]
	v_fma_f32 v3, 0xbeb58ec6, v150, -v16
	v_add_f32_e32 v13, v13, v37
	v_fmamk_f32 v16, v26, 0xbeedf032, v14
	v_fmamk_f32 v22, v28, 0xbf3f9e67, v15
	v_mul_f32_e32 v23, 0xbf3f9e67, v88
	v_add_f32_e32 v19, v120, v68
	v_add_f32_e32 v68, v189, v29
	v_mul_f32_e32 v25, 0x3f52af12, v154
	v_fmac_f32_e32 v20, 0xbf6f5d39, v163
	v_add_f32_e32 v16, v16, v36
	v_add_f32_e32 v13, v22, v13
	v_fmamk_f32 v22, v85, 0x3f29c268, v23
	v_mul_f32_e32 v29, 0x3f116cb1, v168
	v_fma_f32 v2, 0x3f62ad3f, v2, -v21
	v_fmamk_f32 v27, v162, 0x3f116cb1, v25
	v_mul_f32_e32 v30, 0xbf6f5d39, v153
	v_add_f32_e32 v3, v3, v4
	v_add_f32_e32 v16, v22, v16
	v_fmamk_f32 v22, v84, 0xbf52af12, v29
	v_add_f32_e32 v4, v20, v17
	v_mul_f32_e32 v17, 0xbeb58ec6, v176
	v_fmac_f32_e32 v14, 0x3eedf032, v26
	v_add_f32_e32 v1, v2, v1
	v_fma_f32 v2, 0xbf3f9e67, v28, -v15
	v_fmac_f32_e32 v188, 0xbf6f5d39, v26
	v_add_f32_e32 v13, v27, v13
	v_fmamk_f32 v27, v156, 0xbeb58ec6, v30
	v_add_f32_e32 v16, v22, v16
	v_fmamk_f32 v20, v83, 0x3f6f5d39, v17
	v_mul_f32_e32 v15, 0x3f7e222b, v157
	v_add_f32_e32 v0, v14, v0
	v_fmac_f32_e32 v23, 0xbf29c268, v85
	v_add_f32_e32 v1, v2, v1
	v_fma_f32 v2, 0x3f116cb1, v162, -v25
	v_add_f32_e32 v188, v188, v230
	v_fmac_f32_e32 v171, 0xbe750f2a, v85
	v_add_f32_e32 v13, v27, v13
	v_add_f32_e32 v14, v20, v16
	v_fmamk_f32 v16, v150, 0x3df6dbef, v15
	v_add_f32_e32 v20, v23, v0
	v_fmac_f32_e32 v29, 0x3f52af12, v84
	v_add_f32_e32 v1, v2, v1
	v_fma_f32 v2, 0xbeb58ec6, v156, -v30
	v_mul_f32_e32 v186, 0xbeb58ec6, v168
	v_mul_f32_e32 v21, 0x3df6dbef, v185
	v_add_f32_e32 v166, v197, v166
	v_add_f32_e32 v171, v171, v188
	v_mul_f32_e32 v188, 0xbf3f9e67, v168
	v_add_f32_e32 v0, v16, v13
	v_add_f32_e32 v13, v29, v20
	v_fmac_f32_e32 v17, 0xbf6f5d39, v83
	v_add_f32_e32 v2, v2, v1
	v_fma_f32 v15, 0x3df6dbef, v150, -v15
	v_mul_f32_e32 v159, 0xbf29c268, v153
	v_mul_f32_e32 v160, 0xbf3f9e67, v176
	v_add_f32_e32 v144, v144, v151
	v_fmamk_f32 v151, v84, 0x3f6f5d39, v186
	v_fmamk_f32 v16, v163, 0xbf7e222b, v21
	v_lshrrev_b32_e32 v20, 1, v76
	v_add_f32_e32 v134, v134, v166
	v_mul_f32_e32 v166, 0x3f7e222b, v153
	v_add_f32_e32 v31, v31, v112
	v_mul_f32_e32 v112, 0x3df6dbef, v176
	;; [unrolled: 2-line block ×3, first 2 shown]
	v_fmac_f32_e32 v186, 0xbf6f5d39, v84
	v_fmamk_f32 v113, v84, 0xbf29c268, v188
	v_add_f32_e32 v17, v17, v13
	v_add_f32_e32 v13, v15, v2
	v_and_b32_e32 v2, 0xff, v76
	v_add_f32_e32 v135, v135, v152
	v_mul_f32_e32 v123, 0x3f116cb1, v185
	v_fmac_f32_e32 v188, 0x3f29c268, v84
	v_add_f32_e32 v35, v35, v139
	v_add_f32_e32 v108, v51, v108
	v_mul_f32_e32 v161, 0xbe750f2a, v157
	v_mul_f32_e32 v165, 0xbf788fa5, v185
	v_add_f32_e32 v143, v143, v170
	v_fmamk_f32 v170, v156, 0xbf3f9e67, v159
	v_add_f32_e32 v87, v151, v87
	v_fmamk_f32 v151, v83, 0x3f29c268, v160
	v_add_f32_e32 v1, v16, v14
	v_mul_u32_u24_e32 v16, 26, v20
	v_mul_f32_e32 v152, 0x3eedf032, v157
	v_mul_f32_e32 v167, 0x3f62ad3f, v185
	;; [unrolled: 1-line block ×3, first 2 shown]
	v_add_f32_e32 v155, v155, v169
	v_fmamk_f32 v169, v156, 0x3df6dbef, v166
	v_add_f32_e32 v164, v186, v164
	v_fmamk_f32 v186, v83, 0xbf7e222b, v112
	;; [unrolled: 2-line block ×3, first 2 shown]
	v_add_f32_e32 v113, v113, v179
	v_add_f32_e32 v147, v147, v173
	;; [unrolled: 1-line block ×4, first 2 shown]
	v_mul_lo_u16 v2, 0x4f, v2
	v_add_f32_e32 v171, v188, v171
	v_fmamk_f32 v173, v156, 0xbf788fa5, v138
	v_add_f32_e32 v146, v146, v174
	v_fmamk_f32 v188, v163, 0xbf52af12, v123
	v_add_f32_e32 v67, v67, v134
	v_add_f32_e32 v62, v62, v135
	;; [unrolled: 1-line block ×11, first 2 shown]
	v_subrev_nc_u32_e32 v108, 26, v96
	v_fmamk_f32 v179, v150, 0xbf788fa5, v161
	v_add_f32_e32 v177, v184, v177
	v_fmamk_f32 v184, v163, 0x3e750f2a, v165
	v_add_f32_e32 v110, v170, v143
	v_add_f32_e32 v87, v151, v87
	v_or_b32_e32 v15, v16, v77
	v_fmamk_f32 v180, v150, 0x3f62ad3f, v152
	v_fmamk_f32 v172, v163, 0xbeedf032, v167
	;; [unrolled: 1-line block ×3, first 2 shown]
	v_add_f32_e32 v118, v169, v148
	v_add_f32_e32 v113, v186, v113
	;; [unrolled: 1-line block ×6, first 2 shown]
	v_lshrrev_b16 v109, 11, v2
	v_fmamk_f32 v80, v150, 0x3f116cb1, v137
	v_add_f32_e32 v130, v173, v146
	v_add_f32_e32 v48, v54, v67
	;; [unrolled: 1-line block ×14, first 2 shown]
	v_cndmask_b32_e64 v111, v108, v96, s0
	v_add_f32_e32 v57, v179, v110
	v_add_f32_e32 v58, v184, v87
	v_fmac_f32_e32 v21, 0x3f7e222b, v163
	v_lshl_add_u32 v15, v15, 3, 0
	v_add_f32_e32 v61, v180, v118
	v_add_f32_e32 v62, v172, v113
	;; [unrolled: 1-line block ×4, first 2 shown]
	v_mul_lo_u16 v2, v109, 26
	v_add_f32_e32 v9, v80, v130
	ds_write2_b64 v24, v[18:19], v[44:45] offset0:8 offset1:10
	ds_write2_b64 v24, v[31:32], v[42:43] offset0:12 offset1:14
	ds_write2_b64 v24, v[55:56], v[46:47] offset0:16 offset1:18
	ds_write2_b64 v24, v[53:54], v[51:52] offset0:20 offset1:22
	ds_write_b64 v24, v[48:49] offset:192
	ds_write2_b64 v15, v[5:6], v[57:58] offset1:2
	ds_write2_b64 v15, v[61:62], v[65:66] offset0:4 offset1:6
	v_mul_i32_i24_e32 v5, 12, v111
	v_mov_b32_e32 v6, 0
	v_add_f32_e32 v14, v21, v17
	v_fma_f32 v166, 0x3df6dbef, v156, -v166
	v_fmac_f32_e32 v112, 0x3f7e222b, v83
	v_fma_f32 v175, 0x3f116cb1, v156, -v175
	v_sub_nc_u16 v110, v76, v2
	v_mov_b32_e32 v2, 12
	v_fma_f32 v159, 0xbf3f9e67, v156, -v159
	v_fmac_f32_e32 v160, 0xbf29c268, v83
	ds_write2_b64 v15, v[9:10], v[11:12] offset0:8 offset1:10
	ds_write2_b64 v15, v[0:1], v[13:14] offset0:12 offset1:14
	v_lshlrev_b64 v[0:1], 3, v[5:6]
	v_fmac_f32_e32 v123, 0x3f52af12, v163
	v_fma_f32 v152, 0x3f62ad3f, v150, -v152
	v_fmac_f32_e32 v167, 0x3eedf032, v163
	v_fma_f32 v81, 0xbf3f9e67, v150, -v81
	v_add_f32_e32 v121, v166, v177
	v_add_f32_e32 v112, v112, v171
	;; [unrolled: 1-line block ×3, first 2 shown]
	v_mul_u32_u24_sdwa v2, v110, v2 dst_sel:DWORD dst_unused:UNUSED_PAD src0_sel:BYTE_0 src1_sel:DWORD
	v_fma_f32 v161, 0xbf788fa5, v150, -v161
	v_fmac_f32_e32 v165, 0xbe750f2a, v163
	v_add_f32_e32 v114, v159, v155
	v_add_f32_e32 v116, v160, v164
	v_add_co_u32 v40, s1, s8, v0
	v_add_f32_e32 v8, v123, v8
	v_add_co_ci_u32_e64 v41, s1, s9, v1, s1
	v_add_f32_e32 v63, v152, v121
	v_add_f32_e32 v64, v167, v112
	;; [unrolled: 1-line block ×3, first 2 shown]
	v_lshlrev_b32_e32 v44, 3, v2
	v_add_f32_e32 v59, v161, v114
	v_add_f32_e32 v60, v165, v116
	ds_write2_b64 v15, v[3:4], v[7:8] offset0:16 offset1:18
	ds_write2_b64 v15, v[67:68], v[63:64] offset0:20 offset1:22
	ds_write_b64 v15, v[59:60] offset:192
	s_waitcnt lgkmcnt(0)
	s_barrier
	buffer_gl0_inv
	s_clause 0xb
	global_load_dwordx4 v[20:23], v[40:41], off offset:192
	global_load_dwordx4 v[24:27], v44, s[8:9] offset:192
	global_load_dwordx4 v[16:19], v[40:41], off offset:208
	global_load_dwordx4 v[12:15], v44, s[8:9] offset:208
	;; [unrolled: 2-line block ×6, first 2 shown]
	ds_read2_b64 v[92:95], v100 offset0:104 offset1:156
	ds_read2_b64 v[88:91], v102 offset0:80 offset1:132
	;; [unrolled: 1-line block ×12, first 2 shown]
	ds_read2_b64 v[118:121], v100 offset1:52
	v_cmp_lt_u32_e64 s1, 25, v96
	v_lshlrev_b32_e32 v111, 3, v111
	s_waitcnt vmcnt(0) lgkmcnt(0)
	s_barrier
	buffer_gl0_inv
	v_mul_f32_e32 v122, v21, v93
	v_mul_f32_e32 v21, v21, v92
	;; [unrolled: 1-line block ×5, first 2 shown]
	v_fmac_f32_e32 v122, v20, v92
	v_mul_f32_e32 v131, v65, v3
	v_mul_f32_e32 v3, v64, v3
	v_mul_f32_e32 v135, v57, v35
	v_mul_f32_e32 v116, v59, v39
	v_mul_f32_e32 v142, v48, v43
	v_mul_f32_e32 v138, v58, v39
	v_mul_f32_e32 v141, v49, v43
	v_mul_f32_e32 v144, v50, v47
	v_fma_f32 v20, v20, v93, -v21
	v_fma_f32 v21, v95, v24, -v25
	;; [unrolled: 1-line block ×3, first 2 shown]
	v_mul_f32_e32 v125, v90, v27
	v_mul_f32_e32 v126, v17, v85
	;; [unrolled: 1-line block ×13, first 2 shown]
	v_fmac_f32_e32 v131, v64, v2
	v_fma_f32 v64, v65, v2, -v3
	v_fmac_f32_e32 v135, v56, v34
	v_fmac_f32_e32 v116, v58, v38
	v_fma_f32 v56, v59, v38, -v138
	v_fmac_f32_e32 v141, v48, v42
	v_fma_f32 v38, v51, v46, -v144
	v_add_f32_e32 v2, v20, v95
	v_mul_f32_e32 v123, v23, v89
	v_mul_f32_e32 v23, v23, v88
	;; [unrolled: 1-line block ×10, first 2 shown]
	v_fmac_f32_e32 v124, v94, v24
	v_fmac_f32_e32 v115, v90, v26
	;; [unrolled: 1-line block ×3, first 2 shown]
	v_fma_f32 v84, v16, v85, -v17
	v_fmac_f32_e32 v127, v80, v18
	v_fma_f32 v90, v81, v18, -v19
	v_fmac_f32_e32 v112, v78, v4
	;; [unrolled: 2-line block ×4, first 2 shown]
	v_sub_f32_e32 v3, v122, v141
	v_sub_f32_e32 v4, v21, v38
	v_add_f32_e32 v6, v21, v38
	v_mul_f32_e32 v16, 0xbeb58ec6, v2
	v_mul_f32_e32 v18, 0xbf788fa5, v2
	v_mul_f32_e32 v129, v73, v11
	v_mul_f32_e32 v11, v72, v11
	v_mul_f32_e32 v113, v67, v31
	v_mul_f32_e32 v132, v66, v31
	v_mul_f32_e32 v31, v63, v37
	v_mul_f32_e32 v137, v62, v37
	v_mul_f32_e32 v139, v53, v41
	v_mul_f32_e32 v140, v52, v41
	v_fmac_f32_e32 v123, v22, v88
	v_fma_f32 v89, v22, v89, -v23
	v_fma_f32 v88, v91, v26, -v125
	;; [unrolled: 1-line block ×3, first 2 shown]
	v_fmac_f32_e32 v130, v68, v0
	v_fma_f32 v75, v69, v0, -v1
	v_fmac_f32_e32 v106, v70, v28
	v_fma_f32 v37, v71, v28, -v29
	;; [unrolled: 2-line block ×3, first 2 shown]
	v_sub_f32_e32 v0, v20, v95
	v_add_f32_e32 v5, v124, v33
	v_sub_f32_e32 v7, v124, v33
	v_mul_f32_e32 v15, 0x3df6dbef, v2
	v_mul_f32_e32 v19, 0xbf52af12, v4
	;; [unrolled: 1-line block ×7, first 2 shown]
	v_fmamk_f32 v48, v3, 0x3f6f5d39, v16
	v_fmac_f32_e32 v16, 0xbf6f5d39, v3
	v_fmamk_f32 v50, v3, 0x3e750f2a, v18
	v_fmac_f32_e32 v18, 0xbe750f2a, v3
	v_mul_f32_e32 v70, 0xbf3f9e67, v6
	v_mul_f32_e32 v71, 0xbf788fa5, v6
	v_add_f32_e32 v54, v122, v118
	v_add_f32_e32 v20, v20, v119
	v_fmac_f32_e32 v129, v72, v10
	v_fma_f32 v94, v73, v10, -v11
	v_fma_f32 v47, v63, v36, -v137
	v_fmamk_f32 v46, v3, 0x3f7e222b, v15
	v_fmamk_f32 v58, v5, 0x3f116cb1, v19
	v_fma_f32 v19, 0x3f116cb1, v5, -v19
	v_fmamk_f32 v63, v5, 0xbf3f9e67, v24
	v_fma_f32 v65, 0xbf3f9e67, v5, -v24
	v_fmamk_f32 v24, v7, 0x3eedf032, v25
	v_fmac_f32_e32 v25, 0xbeedf032, v7
	v_fmamk_f32 v68, v7, 0x3f52af12, v26
	v_fmac_f32_e32 v26, 0xbf52af12, v7
	;; [unrolled: 2-line block ×6, first 2 shown]
	v_add_f32_e32 v7, v16, v119
	v_add_f32_e32 v16, v18, v119
	v_add_f32_e32 v18, v54, v123
	v_add_f32_e32 v20, v20, v89
	v_mul_f32_e32 v114, v87, v13
	v_mul_f32_e32 v13, v86, v13
	;; [unrolled: 1-line block ×4, first 2 shown]
	v_add_f32_e32 v79, v46, v119
	v_add_f32_e32 v18, v18, v126
	;; [unrolled: 1-line block ×4, first 2 shown]
	v_fma_f32 v45, v87, v12, -v13
	v_fmac_f32_e32 v128, v76, v8
	v_fma_f32 v87, v77, v8, -v9
	v_add_f32_e32 v18, v18, v127
	v_add_f32_e32 v19, v19, v90
	v_fmac_f32_e32 v107, v82, v14
	v_add_f32_e32 v1, v122, v141
	v_mul_f32_e32 v11, 0xbf6f5d39, v0
	v_add_f32_e32 v18, v18, v128
	v_add_f32_e32 v19, v19, v87
	v_mul_f32_e32 v13, 0x3f62ad3f, v2
	v_mul_f32_e32 v14, 0x3f116cb1, v2
	;; [unrolled: 1-line block ×7, first 2 shown]
	v_add_f32_e32 v18, v18, v129
	v_add_f32_e32 v19, v19, v94
	v_fmac_f32_e32 v114, v86, v12
	v_fmac_f32_e32 v113, v66, v30
	v_fmac_f32_e32 v133, v60, v32
	v_fma_f32 v60, v61, v32, -v134
	v_fma_f32 v61, v57, v34, -v136
	;; [unrolled: 1-line block ×3, first 2 shown]
	v_mul_f32_e32 v8, 0xbeedf032, v0
	v_mul_f32_e32 v9, 0xbf52af12, v0
	;; [unrolled: 1-line block ×5, first 2 shown]
	v_fmamk_f32 v34, v1, 0xbeb58ec6, v11
	v_fmamk_f32 v66, v5, 0xbf788fa5, v4
	v_add_f32_e32 v18, v18, v130
	v_add_f32_e32 v19, v19, v75
	v_fma_f32 v43, v67, v30, -v132
	v_fmac_f32_e32 v31, v62, v36
	v_fmac_f32_e32 v139, v52, v40
	v_fmamk_f32 v40, v1, 0xbf788fa5, v0
	v_fma_f32 v44, 0xbf788fa5, v1, -v0
	v_fmamk_f32 v0, v3, 0x3eedf032, v13
	v_fmac_f32_e32 v13, 0xbeedf032, v3
	v_fmamk_f32 v51, v5, 0x3f62ad3f, v2
	v_fma_f32 v57, 0x3f62ad3f, v5, -v2
	v_fmamk_f32 v59, v5, 0x3df6dbef, v22
	v_fma_f32 v22, 0x3df6dbef, v5, -v22
	;; [unrolled: 2-line block ×3, first 2 shown]
	v_fma_f32 v67, 0xbf788fa5, v5, -v4
	v_add_f32_e32 v5, v34, v118
	v_add_f32_e32 v34, v28, v121
	;; [unrolled: 1-line block ×6, first 2 shown]
	v_sub_f32_e32 v66, v89, v53
	v_fmamk_f32 v29, v1, 0x3f62ad3f, v8
	v_fma_f32 v8, 0x3f62ad3f, v1, -v8
	v_fmamk_f32 v30, v1, 0x3f116cb1, v9
	v_fmamk_f32 v32, v1, 0x3df6dbef, v10
	v_fma_f32 v10, 0x3df6dbef, v1, -v10
	v_fmamk_f32 v36, v1, 0xbf3f9e67, v12
	v_fma_f32 v12, 0xbf3f9e67, v1, -v12
	v_fmamk_f32 v49, v3, 0x3f29c268, v17
	v_add_f32_e32 v76, v13, v119
	v_add_f32_e32 v4, v48, v119
	;; [unrolled: 1-line block ×10, first 2 shown]
	v_mul_f32_e32 v83, 0xbf52af12, v66
	v_fma_f32 v9, 0x3f116cb1, v1, -v9
	v_fma_f32 v11, 0xbeb58ec6, v1, -v11
	v_fmamk_f32 v1, v3, 0x3f52af12, v14
	v_fmac_f32_e32 v14, 0xbf52af12, v3
	v_fmac_f32_e32 v15, 0xbf7e222b, v3
	;; [unrolled: 1-line block ×3, first 2 shown]
	v_add_f32_e32 v85, v29, v118
	v_add_f32_e32 v77, v8, v118
	;; [unrolled: 1-line block ×12, first 2 shown]
	v_sub_f32_e32 v57, v123, v139
	v_mul_f32_e32 v81, 0x3f116cb1, v67
	v_fmamk_f32 v62, v55, 0x3f116cb1, v83
	v_sub_f32_e32 v68, v84, v61
	v_add_f32_e32 v86, v0, v119
	v_add_f32_e32 v80, v1, v119
	;; [unrolled: 1-line block ×10, first 2 shown]
	v_fmamk_f32 v59, v57, 0x3f52af12, v81
	v_add_f32_e32 v62, v62, v85
	v_add_f32_e32 v58, v126, v135
	v_mul_f32_e32 v85, 0xbf7e222b, v68
	v_add_f32_e32 v69, v84, v61
	v_sub_f32_e32 v71, v90, v60
	v_add_f32_e32 v78, v32, v118
	v_add_f32_e32 v6, v11, v118
	v_add_f32_e32 v11, v17, v119
	v_add_f32_e32 v17, v44, v118
	v_add_f32_e32 v44, v26, v121
	v_add_f32_e32 v32, v22, v120
	v_add_f32_e32 v26, v23, v120
	v_add_f32_e32 v23, v65, v120
	v_add_f32_e32 v22, v70, v121
	v_add_f32_e32 v65, v59, v86
	v_sub_f32_e32 v59, v126, v135
	v_fmamk_f32 v61, v58, 0x3df6dbef, v85
	v_mul_f32_e32 v86, 0x3df6dbef, v69
	v_add_f32_e32 v70, v90, v60
	v_add_f32_e32 v60, v127, v133
	v_mul_f32_e32 v89, 0xbf6f5d39, v71
	v_add_f32_e32 v2, v15, v119
	v_add_f32_e32 v15, v21, v121
	;; [unrolled: 1-line block ×8, first 2 shown]
	v_fmamk_f32 v72, v59, 0x3f7e222b, v86
	v_sub_f32_e32 v61, v127, v133
	v_mul_f32_e32 v84, 0xbeb58ec6, v70
	v_fmamk_f32 v74, v60, 0xbeb58ec6, v89
	v_sub_f32_e32 v73, v87, v64
	v_add_f32_e32 v93, v63, v141
	v_add_f32_e32 v63, v72, v65
	v_fmamk_f32 v65, v61, 0x3f6f5d39, v84
	v_add_f32_e32 v118, v74, v62
	v_add_f32_e32 v72, v87, v64
	;; [unrolled: 1-line block ×3, first 2 shown]
	v_mul_f32_e32 v92, 0xbf29c268, v73
	v_sub_f32_e32 v74, v94, v75
	v_add_f32_e32 v0, v14, v119
	v_add_f32_e32 v119, v65, v63
	v_sub_f32_e32 v63, v128, v131
	v_mul_f32_e32 v90, 0xbf3f9e67, v72
	v_fmamk_f32 v65, v62, 0xbf3f9e67, v92
	v_add_f32_e32 v64, v129, v130
	v_mul_f32_e32 v91, 0xbe750f2a, v74
	v_add_f32_e32 v75, v94, v75
	v_add_f32_e32 v14, v124, v120
	v_fmamk_f32 v120, v63, 0x3f29c268, v90
	v_add_f32_e32 v118, v65, v118
	v_sub_f32_e32 v65, v129, v130
	v_fmamk_f32 v121, v64, 0xbf788fa5, v91
	v_mul_f32_e32 v87, 0xbf788fa5, v75
	v_add_f32_e32 v94, v53, v95
	v_mul_f32_e32 v95, 0xbf6f5d39, v66
	v_add_f32_e32 v53, v120, v119
	v_add_f32_e32 v118, v121, v118
	v_fmamk_f32 v119, v65, 0x3e750f2a, v87
	v_cndmask_b32_e64 v120, 0, 0xa90, s1
	v_fmamk_f32 v121, v55, 0xbeb58ec6, v95
	v_mul_f32_e32 v122, 0xbeb58ec6, v67
	v_mul_f32_e32 v123, 0xbe750f2a, v68
	v_add_f32_e32 v119, v119, v53
	v_add3_u32 v53, 0, v120, v111
	v_add_f32_e32 v82, v121, v82
	v_fmamk_f32 v111, v57, 0x3f6f5d39, v122
	v_fmamk_f32 v120, v58, 0xbf788fa5, v123
	v_mul_f32_e32 v121, 0xbf788fa5, v69
	v_mul_f32_e32 v124, 0x3f29c268, v71
	v_mul_f32_e32 v125, 0xbf3f9e67, v70
	v_add_f32_e32 v80, v111, v80
	v_add_f32_e32 v82, v120, v82
	v_fmamk_f32 v111, v59, 0x3e750f2a, v121
	v_fmamk_f32 v120, v60, 0xbf3f9e67, v124
	v_mul_f32_e32 v126, 0x3f7e222b, v73
	v_mul_f32_e32 v127, 0x3df6dbef, v72
	ds_write2_b64 v53, v[93:94], v[118:119] offset1:26
	v_add_f32_e32 v80, v111, v80
	v_add_f32_e32 v82, v120, v82
	v_fmamk_f32 v111, v61, 0xbf29c268, v125
	v_fmamk_f32 v120, v62, 0x3df6dbef, v126
	;; [unrolled: 1-line block ×3, first 2 shown]
	v_mul_f32_e32 v118, 0x3f6f5d39, v68
	v_mul_f32_e32 v119, 0xbeb58ec6, v69
	v_add_f32_e32 v80, v111, v80
	v_add_f32_e32 v82, v120, v82
	v_mul_f32_e32 v111, 0xbe750f2a, v66
	v_mul_f32_e32 v120, 0xbf788fa5, v67
	;; [unrolled: 1-line block ×3, first 2 shown]
	v_add_f32_e32 v80, v129, v80
	v_mul_f32_e32 v129, 0x3eedf032, v71
	v_fmamk_f32 v93, v55, 0xbf788fa5, v111
	v_fmamk_f32 v94, v57, 0x3e750f2a, v120
	v_mul_f32_e32 v131, 0x3f62ad3f, v75
	v_mul_f32_e32 v132, 0x3f62ad3f, v70
	v_fmamk_f32 v130, v64, 0x3f62ad3f, v128
	v_add_f32_e32 v78, v93, v78
	v_add_f32_e32 v79, v94, v79
	v_fmamk_f32 v93, v58, 0xbeb58ec6, v118
	v_fmamk_f32 v94, v59, 0xbf6f5d39, v119
	;; [unrolled: 1-line block ×3, first 2 shown]
	v_mul_f32_e32 v134, 0x3f116cb1, v72
	v_fmamk_f32 v135, v65, 0xbeedf032, v131
	v_add_f32_e32 v78, v93, v78
	v_add_f32_e32 v79, v94, v79
	v_fmamk_f32 v93, v60, 0x3f62ad3f, v129
	v_mul_f32_e32 v94, 0xbf52af12, v73
	v_fmamk_f32 v137, v63, 0x3f52af12, v134
	v_fmac_f32_e32 v81, 0xbf52af12, v57
	v_add_f32_e32 v133, v133, v79
	v_add_f32_e32 v93, v93, v78
	v_fmamk_f32 v136, v62, 0x3f116cb1, v94
	v_add_f32_e32 v78, v130, v82
	v_add_f32_e32 v79, v135, v80
	v_fma_f32 v82, 0x3f116cb1, v55, -v83
	v_mul_f32_e32 v130, 0xbf3f9e67, v75
	v_add_f32_e32 v80, v136, v93
	v_mul_f32_e32 v93, 0xbf29c268, v74
	v_add_f32_e32 v83, v137, v133
	v_add_f32_e32 v77, v82, v77
	v_fma_f32 v82, 0x3df6dbef, v58, -v85
	v_fmamk_f32 v133, v65, 0x3f29c268, v130
	v_fmamk_f32 v85, v64, 0xbf3f9e67, v93
	v_add_f32_e32 v81, v81, v76
	v_fmac_f32_e32 v86, 0xbf7e222b, v59
	v_add_f32_e32 v82, v82, v77
	v_add_f32_e32 v77, v133, v83
	;; [unrolled: 1-line block ×3, first 2 shown]
	v_fmac_f32_e32 v84, 0xbf6f5d39, v61
	v_add_f32_e32 v80, v86, v81
	v_fma_f32 v89, 0xbeb58ec6, v60, -v89
	v_fmac_f32_e32 v90, 0xbf29c268, v63
	ds_write2_b64 v53, v[78:79], v[76:77] offset0:52 offset1:78
	v_fma_f32 v76, 0xbeb58ec6, v55, -v95
	v_add_f32_e32 v77, v84, v80
	v_add_f32_e32 v81, v89, v82
	v_fma_f32 v82, 0xbf3f9e67, v62, -v92
	v_fmac_f32_e32 v122, 0xbf6f5d39, v57
	v_add_f32_e32 v1, v76, v1
	v_fma_f32 v76, 0xbf788fa5, v58, -v123
	v_add_f32_e32 v77, v90, v77
	v_fmac_f32_e32 v87, 0xbe750f2a, v65
	v_add_f32_e32 v78, v82, v81
	v_fma_f32 v79, 0xbf788fa5, v64, -v91
	v_add_f32_e32 v1, v76, v1
	v_fma_f32 v76, 0xbf3f9e67, v60, -v124
	v_add_f32_e32 v80, v122, v0
	v_fmac_f32_e32 v121, 0xbe750f2a, v59
	v_add_f32_e32 v0, v79, v78
	v_fmac_f32_e32 v125, 0x3f29c268, v61
	v_add_f32_e32 v76, v76, v1
	v_add_f32_e32 v1, v87, v77
	v_fma_f32 v77, 0xbf788fa5, v55, -v111
	v_add_f32_e32 v78, v121, v80
	v_fma_f32 v79, 0x3df6dbef, v62, -v126
	v_fmac_f32_e32 v120, 0xbe750f2a, v57
	v_fmac_f32_e32 v127, 0x3f7e222b, v63
	v_add_f32_e32 v3, v77, v3
	v_fma_f32 v77, 0xbeb58ec6, v58, -v118
	v_add_f32_e32 v78, v125, v78
	v_add_f32_e32 v76, v79, v76
	v_fma_f32 v79, 0x3f62ad3f, v64, -v128
	v_add_f32_e32 v80, v120, v2
	v_fmac_f32_e32 v119, 0x3f6f5d39, v59
	v_add_f32_e32 v3, v77, v3
	v_fma_f32 v77, 0x3f62ad3f, v60, -v129
	v_add_f32_e32 v78, v127, v78
	v_fmac_f32_e32 v131, 0x3eedf032, v65
	v_add_f32_e32 v2, v79, v76
	v_add_f32_e32 v76, v119, v80
	;; [unrolled: 1-line block ×3, first 2 shown]
	v_fma_f32 v79, 0x3f116cb1, v62, -v94
	v_mul_f32_e32 v80, 0x3f29c268, v66
	v_fmac_f32_e32 v132, 0x3eedf032, v61
	v_add_f32_e32 v3, v131, v78
	v_mul_f32_e32 v81, 0x3eedf032, v68
	v_add_f32_e32 v77, v79, v77
	v_fmamk_f32 v78, v55, 0xbf3f9e67, v80
	v_mul_f32_e32 v79, 0xbf3f9e67, v67
	v_add_f32_e32 v76, v132, v76
	v_fmac_f32_e32 v134, 0xbf52af12, v63
	v_fmamk_f32 v83, v58, 0x3f62ad3f, v81
	v_add_f32_e32 v5, v78, v5
	v_fmamk_f32 v78, v57, 0xbf29c268, v79
	v_mul_f32_e32 v84, 0x3f62ad3f, v69
	v_mul_f32_e32 v85, 0xbf7e222b, v71
	v_add_f32_e32 v76, v134, v76
	v_fma_f32 v82, 0xbf3f9e67, v64, -v93
	v_fmac_f32_e32 v130, 0xbf29c268, v65
	v_add_f32_e32 v78, v78, v4
	v_add_f32_e32 v5, v83, v5
	v_fmamk_f32 v83, v59, 0xbeedf032, v84
	v_fmamk_f32 v86, v60, 0x3df6dbef, v85
	v_mul_f32_e32 v87, 0x3df6dbef, v70
	v_mul_f32_e32 v89, 0x3e750f2a, v73
	v_add_f32_e32 v4, v82, v77
	v_add_f32_e32 v77, v83, v78
	;; [unrolled: 1-line block ×3, first 2 shown]
	v_fmamk_f32 v82, v61, 0x3f7e222b, v87
	v_add_f32_e32 v5, v130, v76
	v_fma_f32 v76, 0xbf3f9e67, v55, -v80
	v_fmac_f32_e32 v79, 0x3f29c268, v57
	v_mul_f32_e32 v80, 0xbf788fa5, v72
	v_fmamk_f32 v83, v62, 0xbf788fa5, v89
	v_add_f32_e32 v77, v82, v77
	v_fmac_f32_e32 v84, 0x3eedf032, v59
	v_add_f32_e32 v7, v79, v7
	v_fmamk_f32 v79, v63, 0xbe750f2a, v80
	v_mul_f32_e32 v82, 0x3f116cb1, v75
	v_add_f32_e32 v78, v83, v78
	v_add_f32_e32 v6, v76, v6
	v_fma_f32 v76, 0x3f62ad3f, v58, -v81
	v_mul_f32_e32 v81, 0x3f52af12, v74
	v_add_f32_e32 v7, v84, v7
	v_fmac_f32_e32 v87, 0xbf7e222b, v61
	v_add_f32_e32 v77, v79, v77
	v_fmamk_f32 v83, v65, 0xbf52af12, v82
	v_add_f32_e32 v6, v76, v6
	v_fma_f32 v76, 0x3df6dbef, v60, -v85
	v_fmamk_f32 v79, v64, 0x3f116cb1, v81
	v_add_f32_e32 v84, v87, v7
	v_fmac_f32_e32 v80, 0x3e750f2a, v63
	v_add_f32_e32 v7, v83, v77
	v_mul_f32_e32 v77, 0x3f7e222b, v66
	v_add_f32_e32 v76, v76, v6
	v_fma_f32 v85, 0xbf788fa5, v62, -v89
	v_add_f32_e32 v6, v79, v78
	v_add_f32_e32 v78, v80, v84
	v_mul_f32_e32 v79, 0x3df6dbef, v67
	v_fma_f32 v80, 0x3f116cb1, v64, -v81
	v_fmamk_f32 v81, v55, 0x3df6dbef, v77
	v_mul_f32_e32 v83, 0xbf52af12, v68
	v_add_f32_e32 v76, v85, v76
	v_fmamk_f32 v84, v57, 0xbf7e222b, v79
	v_mul_f32_e32 v85, 0x3f116cb1, v69
	v_add_f32_e32 v9, v81, v9
	;; [unrolled: 3-line block ×5, first 2 shown]
	v_add_f32_e32 v8, v80, v76
	v_fmamk_f32 v80, v62, 0x3f62ad3f, v89
	v_add_f32_e32 v76, v81, v9
	v_fma_f32 v77, 0x3df6dbef, v55, -v77
	v_fmac_f32_e32 v79, 0x3f7e222b, v57
	v_fmac_f32_e32 v82, 0x3f52af12, v65
	v_fmamk_f32 v90, v61, 0xbe750f2a, v87
	v_add_f32_e32 v76, v80, v76
	v_mul_f32_e32 v80, 0x3f62ad3f, v72
	v_mul_f32_e32 v81, 0xbf6f5d39, v74
	v_add_f32_e32 v10, v77, v10
	v_add_f32_e32 v11, v79, v11
	v_fma_f32 v77, 0x3f116cb1, v58, -v83
	v_fmac_f32_e32 v85, 0xbf52af12, v59
	v_add_f32_e32 v9, v82, v78
	v_add_f32_e32 v78, v90, v84
	v_fmamk_f32 v79, v63, 0xbeedf032, v80
	v_fmamk_f32 v82, v64, 0xbeb58ec6, v81
	v_mul_f32_e32 v83, 0xbeb58ec6, v75
	v_add_f32_e32 v77, v77, v10
	v_add_f32_e32 v11, v85, v11
	v_fma_f32 v84, 0xbf788fa5, v60, -v86
	v_fmac_f32_e32 v87, 0x3e750f2a, v61
	v_add_f32_e32 v78, v79, v78
	v_add_f32_e32 v10, v82, v76
	v_fmamk_f32 v76, v65, 0x3f6f5d39, v83
	v_add_f32_e32 v77, v84, v77
	v_add_f32_e32 v79, v87, v11
	v_fma_f32 v82, 0x3f62ad3f, v62, -v89
	v_fmac_f32_e32 v80, 0x3eedf032, v63
	v_mul_f32_e32 v66, 0x3eedf032, v66
	v_mul_f32_e32 v67, 0x3f62ad3f, v67
	v_add_f32_e32 v11, v76, v78
	v_add_f32_e32 v76, v82, v77
	;; [unrolled: 1-line block ×3, first 2 shown]
	v_fmamk_f32 v78, v55, 0x3f62ad3f, v66
	v_fmamk_f32 v79, v57, 0xbeedf032, v67
	v_mul_f32_e32 v68, 0xbf29c268, v68
	v_mul_f32_e32 v69, 0xbf3f9e67, v69
	v_mul_f32_e32 v71, 0x3f52af12, v71
	v_add_f32_e32 v12, v78, v12
	v_add_f32_e32 v13, v79, v13
	v_fmamk_f32 v78, v58, 0xbf3f9e67, v68
	v_fmamk_f32 v79, v59, 0x3f29c268, v69
	v_fma_f32 v80, 0xbeb58ec6, v64, -v81
	v_mul_f32_e32 v70, 0x3f116cb1, v70
	v_mul_f32_e32 v73, 0xbf6f5d39, v73
	v_add_f32_e32 v78, v78, v12
	v_add_f32_e32 v13, v79, v13
	v_fmamk_f32 v79, v60, 0x3f116cb1, v71
	v_fmac_f32_e32 v83, 0xbf6f5d39, v65
	v_fmamk_f32 v81, v61, 0xbf52af12, v70
	v_add_f32_e32 v12, v80, v76
	v_mul_f32_e32 v72, 0xbeb58ec6, v72
	v_add_f32_e32 v76, v79, v78
	v_fmamk_f32 v78, v62, 0xbeb58ec6, v73
	v_mul_f32_e32 v74, 0x3f7e222b, v74
	v_add_f32_e32 v79, v81, v13
	v_fmamk_f32 v80, v63, 0x3f6f5d39, v72
	v_add_f32_e32 v13, v83, v77
	v_add_f32_e32 v76, v78, v76
	v_fmamk_f32 v77, v64, 0x3df6dbef, v74
	v_add_f32_e32 v15, v15, v88
	v_add_f32_e32 v78, v80, v79
	;; [unrolled: 1-line block ×3, first 2 shown]
	v_fma_f32 v55, 0x3f62ad3f, v55, -v66
	v_add_f32_e32 v14, v77, v76
	v_add_f32_e32 v76, v15, v45
	v_fmac_f32_e32 v67, 0x3eedf032, v57
	v_fma_f32 v58, 0xbf3f9e67, v58, -v68
	v_add_f32_e32 v17, v55, v17
	v_add_f32_e32 v66, v79, v114
	;; [unrolled: 1-line block ×4, first 2 shown]
	v_fmac_f32_e32 v69, 0xbf29c268, v59
	v_add_f32_e32 v17, v58, v17
	v_fma_f32 v58, 0x3f116cb1, v60, -v71
	v_add_f32_e32 v57, v57, v39
	v_add_f32_e32 v55, v66, v107
	;; [unrolled: 1-line block ×3, first 2 shown]
	v_fmac_f32_e32 v70, 0x3f52af12, v61
	v_add_f32_e32 v17, v58, v17
	v_add_f32_e32 v57, v57, v35
	v_fma_f32 v58, 0xbeb58ec6, v62, -v73
	v_mul_f32_e32 v75, 0x3df6dbef, v75
	v_add_f32_e32 v55, v55, v112
	v_add_f32_e32 v16, v70, v16
	;; [unrolled: 1-line block ×3, first 2 shown]
	v_fmac_f32_e32 v72, 0xbf6f5d39, v63
	v_add_f32_e32 v17, v58, v17
	v_fma_f32 v58, 0x3df6dbef, v64, -v74
	v_fmamk_f32 v80, v65, 0xbf7e222b, v75
	v_add_f32_e32 v55, v55, v27
	v_add_f32_e32 v57, v57, v43
	;; [unrolled: 1-line block ×3, first 2 shown]
	v_fmac_f32_e32 v75, 0x3f7e222b, v65
	v_add_f32_e32 v16, v58, v17
	v_sub_f32_e32 v58, v88, v42
	v_add_f32_e32 v55, v55, v106
	v_add_f32_e32 v57, v57, v47
	;; [unrolled: 1-line block ×4, first 2 shown]
	v_mul_f32_e32 v60, 0xbf52af12, v58
	v_add_f32_e32 v61, v88, v42
	v_add_f32_e32 v55, v55, v113
	v_add_f32_e32 v57, v57, v56
	v_sub_f32_e32 v62, v115, v117
	v_sub_f32_e32 v63, v45, v56
	v_fmamk_f32 v64, v59, 0x3f116cb1, v60
	v_mul_f32_e32 v65, 0x3f116cb1, v61
	v_add_f32_e32 v45, v45, v56
	v_add_f32_e32 v55, v55, v31
	;; [unrolled: 1-line block ×3, first 2 shown]
	v_mul_f32_e32 v66, 0xbf7e222b, v63
	v_add_f32_e32 v52, v64, v52
	v_fmamk_f32 v64, v62, 0x3f52af12, v65
	v_sub_f32_e32 v67, v114, v116
	v_mul_f32_e32 v68, 0x3df6dbef, v45
	v_add_f32_e32 v42, v57, v42
	v_sub_f32_e32 v57, v41, v47
	v_add_f32_e32 v47, v41, v47
	v_add_f32_e32 v55, v55, v116
	v_fmamk_f32 v69, v56, 0x3df6dbef, v66
	v_add_f32_e32 v54, v64, v54
	v_fmamk_f32 v64, v67, 0x3f7e222b, v68
	v_sub_f32_e32 v71, v107, v31
	v_mul_f32_e32 v72, 0xbeb58ec6, v47
	v_add_f32_e32 v55, v55, v117
	v_add_f32_e32 v52, v69, v52
	v_add_f32_e32 v69, v107, v31
	v_mul_f32_e32 v70, 0xbf6f5d39, v57
	v_add_f32_e32 v54, v64, v54
	v_sub_f32_e32 v64, v39, v43
	v_add_f32_e32 v39, v39, v43
	v_fmamk_f32 v43, v71, 0x3f6f5d39, v72
	v_fmamk_f32 v31, v69, 0xbeb58ec6, v70
	v_add_f32_e32 v73, v112, v113
	v_mul_f32_e32 v74, 0xbf29c268, v64
	v_add_f32_e32 v41, v55, v33
	v_add_f32_e32 v33, v43, v54
	v_sub_f32_e32 v54, v35, v37
	v_fma_f32 v43, 0x3f116cb1, v59, -v60
	v_fmac_f32_e32 v65, 0xbf52af12, v62
	v_add_f32_e32 v31, v31, v52
	v_sub_f32_e32 v52, v112, v113
	v_fmamk_f32 v75, v73, 0xbf3f9e67, v74
	v_mul_f32_e32 v76, 0xbf3f9e67, v39
	v_add_f32_e32 v35, v35, v37
	v_add_f32_e32 v55, v27, v106
	v_mul_f32_e32 v60, 0xbe750f2a, v54
	v_add_f32_e32 v37, v43, v50
	v_add_f32_e32 v43, v65, v51
	v_fma_f32 v50, 0x3df6dbef, v56, -v66
	v_fmac_f32_e32 v68, 0xbf7e222b, v67
	v_add_f32_e32 v42, v42, v38
	v_add_f32_e32 v31, v75, v31
	v_fmamk_f32 v38, v52, 0x3f29c268, v76
	v_sub_f32_e32 v65, v27, v106
	v_fmamk_f32 v27, v55, 0xbf788fa5, v60
	v_mul_f32_e32 v51, 0xbf788fa5, v35
	v_add_f32_e32 v50, v50, v37
	v_add_f32_e32 v43, v68, v43
	v_fma_f32 v66, 0xbeb58ec6, v69, -v70
	v_fmac_f32_e32 v72, 0xbf6f5d39, v71
	v_add_f32_e32 v33, v38, v33
	v_add_f32_e32 v37, v27, v31
	v_fmamk_f32 v27, v65, 0x3e750f2a, v51
	v_add_f32_e32 v31, v66, v50
	v_add_f32_e32 v43, v72, v43
	v_fma_f32 v50, 0xbf3f9e67, v73, -v74
	v_fmac_f32_e32 v76, 0xbf29c268, v52
	v_mul_f32_e32 v66, 0xbf6f5d39, v58
	v_mul_f32_e32 v68, 0xbeb58ec6, v61
	v_add_f32_e32 v38, v27, v33
	v_add_f32_e32 v27, v50, v31
	;; [unrolled: 1-line block ×3, first 2 shown]
	v_fmamk_f32 v33, v59, 0xbeb58ec6, v66
	v_fmamk_f32 v43, v62, 0x3f6f5d39, v68
	v_mul_f32_e32 v50, 0xbe750f2a, v63
	v_mul_f32_e32 v70, 0xbf788fa5, v45
	v_mul_f32_e32 v72, 0x3f29c268, v57
	v_add_f32_e32 v33, v33, v48
	v_add_f32_e32 v43, v43, v49
	v_fmamk_f32 v48, v56, 0xbf788fa5, v50
	v_fmamk_f32 v49, v67, 0x3e750f2a, v70
	v_fma_f32 v60, 0xbf788fa5, v55, -v60
	v_mul_f32_e32 v74, 0xbf3f9e67, v47
	v_mul_f32_e32 v75, 0x3f7e222b, v64
	v_add_f32_e32 v33, v48, v33
	v_add_f32_e32 v43, v49, v43
	v_fmamk_f32 v49, v69, 0xbf3f9e67, v72
	v_fmac_f32_e32 v51, 0xbe750f2a, v65
	v_fmamk_f32 v76, v71, 0xbf29c268, v74
	v_mul_f32_e32 v77, 0x3df6dbef, v39
	v_add_f32_e32 v48, v60, v27
	v_add_f32_e32 v27, v49, v33
	v_fmamk_f32 v33, v73, 0x3df6dbef, v75
	v_add_f32_e32 v43, v76, v43
	v_fmamk_f32 v60, v52, 0xbf7e222b, v77
	v_add_f32_e32 v49, v51, v31
	v_fma_f32 v31, 0xbeb58ec6, v59, -v66
	v_add_f32_e32 v27, v33, v27
	v_mul_f32_e32 v33, 0x3eedf032, v54
	v_fmac_f32_e32 v68, 0xbf6f5d39, v62
	v_add_f32_e32 v51, v60, v43
	v_add_f32_e32 v31, v31, v46
	v_fma_f32 v43, 0xbf788fa5, v56, -v50
	v_fmamk_f32 v46, v55, 0x3f62ad3f, v33
	v_mul_f32_e32 v60, 0x3f62ad3f, v35
	v_add_f32_e32 v44, v68, v44
	v_fmac_f32_e32 v70, 0xbe750f2a, v67
	v_add_f32_e32 v31, v43, v31
	v_add_f32_e32 v43, v46, v27
	v_fmamk_f32 v27, v65, 0xbeedf032, v60
	v_fmac_f32_e32 v74, 0x3f29c268, v71
	v_add_f32_e32 v46, v70, v44
	v_mul_f32_e32 v66, 0xbe750f2a, v58
	v_fma_f32 v50, 0xbf3f9e67, v69, -v72
	v_add_f32_e32 v44, v27, v51
	v_mul_f32_e32 v68, 0xbf788fa5, v61
	v_add_f32_e32 v27, v74, v46
	v_fmamk_f32 v46, v59, 0xbf788fa5, v66
	v_add_f32_e32 v31, v50, v31
	v_fma_f32 v50, 0x3df6dbef, v73, -v75
	v_mul_f32_e32 v70, 0x3f6f5d39, v63
	v_mul_f32_e32 v72, 0xbeb58ec6, v45
	v_add_f32_e32 v40, v46, v40
	v_fmamk_f32 v46, v62, 0x3e750f2a, v68
	v_fmac_f32_e32 v77, 0x3f7e222b, v52
	v_add_f32_e32 v31, v50, v31
	v_fma_f32 v33, 0x3f62ad3f, v55, -v33
	v_fmamk_f32 v50, v56, 0xbeb58ec6, v70
	v_mul_f32_e32 v74, 0x3eedf032, v57
	v_add_f32_e32 v36, v46, v36
	v_fmamk_f32 v46, v67, 0xbf6f5d39, v72
	v_mul_f32_e32 v75, 0x3f62ad3f, v47
	v_add_f32_e32 v27, v77, v27
	v_fmac_f32_e32 v60, 0x3eedf032, v65
	v_add_f32_e32 v40, v50, v40
	v_fmamk_f32 v51, v69, 0x3f62ad3f, v74
	v_mul_f32_e32 v76, 0xbf52af12, v64
	v_add_f32_e32 v50, v33, v31
	v_add_f32_e32 v31, v46, v36
	v_fmamk_f32 v36, v71, 0xbeedf032, v75
	v_add_f32_e32 v33, v51, v40
	v_fmamk_f32 v40, v73, 0x3f116cb1, v76
	v_add_f32_e32 v51, v60, v27
	v_fma_f32 v27, 0xbf788fa5, v59, -v66
	v_fmac_f32_e32 v68, 0xbe750f2a, v62
	v_add_f32_e32 v31, v36, v31
	v_mul_f32_e32 v36, 0x3f116cb1, v39
	v_add_f32_e32 v33, v40, v33
	v_add_f32_e32 v27, v27, v32
	;; [unrolled: 1-line block ×3, first 2 shown]
	v_fma_f32 v34, 0xbeb58ec6, v56, -v70
	v_fmac_f32_e32 v72, 0x3f6f5d39, v67
	v_fmamk_f32 v40, v52, 0x3f52af12, v36
	v_mul_f32_e32 v46, 0xbf29c268, v54
	v_mul_f32_e32 v60, 0xbf3f9e67, v35
	v_add_f32_e32 v27, v34, v27
	v_add_f32_e32 v32, v72, v32
	v_fma_f32 v34, 0x3f62ad3f, v69, -v74
	v_fmac_f32_e32 v75, 0x3eedf032, v71
	v_add_f32_e32 v40, v40, v31
	v_fmamk_f32 v31, v55, 0xbf3f9e67, v46
	v_fmamk_f32 v66, v65, 0x3f29c268, v60
	v_add_f32_e32 v27, v34, v27
	v_add_f32_e32 v34, v75, v32
	v_fmac_f32_e32 v36, 0xbf52af12, v52
	v_add_f32_e32 v31, v31, v33
	v_mul_f32_e32 v33, 0x3f29c268, v58
	v_fma_f32 v68, 0x3f116cb1, v73, -v76
	v_add_f32_e32 v32, v66, v40
	v_add_f32_e32 v34, v36, v34
	v_mul_f32_e32 v36, 0xbf3f9e67, v61
	v_fma_f32 v40, 0xbf3f9e67, v55, -v46
	v_fmamk_f32 v46, v59, 0xbf3f9e67, v33
	v_mul_f32_e32 v66, 0x3eedf032, v63
	v_add_f32_e32 v27, v68, v27
	v_fmamk_f32 v68, v62, 0xbf29c268, v36
	v_mul_f32_e32 v70, 0x3f62ad3f, v45
	v_add_f32_e32 v30, v46, v30
	;; [unrolled: 3-line block ×5, first 2 shown]
	v_add_f32_e32 v29, v40, v27
	v_fmamk_f32 v40, v73, 0xbf788fa5, v75
	v_add_f32_e32 v27, v46, v30
	v_fma_f32 v33, 0xbf3f9e67, v59, -v33
	v_fmac_f32_e32 v36, 0x3f29c268, v62
	v_fmac_f32_e32 v60, 0xbf29c268, v65
	v_fmamk_f32 v76, v71, 0x3f7e222b, v74
	v_add_f32_e32 v27, v40, v27
	v_mul_f32_e32 v40, 0xbf788fa5, v39
	v_mul_f32_e32 v46, 0x3f52af12, v54
	v_add_f32_e32 v26, v33, v26
	v_add_f32_e32 v28, v36, v28
	v_fma_f32 v33, 0x3f62ad3f, v56, -v66
	v_fmac_f32_e32 v70, 0x3eedf032, v67
	v_add_f32_e32 v30, v60, v34
	v_add_f32_e32 v34, v76, v68
	v_fmamk_f32 v36, v52, 0xbe750f2a, v40
	v_fmamk_f32 v60, v55, 0x3f116cb1, v46
	v_mul_f32_e32 v66, 0x3f116cb1, v35
	v_add_f32_e32 v33, v33, v26
	v_add_f32_e32 v28, v70, v28
	v_fma_f32 v68, 0x3df6dbef, v69, -v72
	v_fmac_f32_e32 v74, 0xbf7e222b, v71
	v_add_f32_e32 v34, v36, v34
	v_add_f32_e32 v26, v60, v27
	v_fmamk_f32 v27, v65, 0xbf52af12, v66
	v_add_f32_e32 v33, v68, v33
	v_add_f32_e32 v28, v74, v28
	v_fma_f32 v36, 0xbf788fa5, v73, -v75
	v_fmac_f32_e32 v40, 0x3e750f2a, v52
	v_mul_f32_e32 v60, 0x3f7e222b, v58
	v_mul_f32_e32 v68, 0x3df6dbef, v61
	v_add_f32_e32 v27, v27, v34
	v_add_f32_e32 v33, v36, v33
	;; [unrolled: 1-line block ×3, first 2 shown]
	v_fmamk_f32 v34, v59, 0x3df6dbef, v60
	v_fmamk_f32 v36, v62, 0xbf7e222b, v68
	v_mul_f32_e32 v40, 0xbf52af12, v63
	v_mul_f32_e32 v70, 0x3f116cb1, v45
	;; [unrolled: 1-line block ×3, first 2 shown]
	v_add_f32_e32 v24, v34, v24
	v_add_f32_e32 v25, v36, v25
	v_fmamk_f32 v34, v56, 0x3f116cb1, v40
	v_fmamk_f32 v36, v67, 0x3f52af12, v70
	v_mul_f32_e32 v74, 0xbf788fa5, v47
	v_fma_f32 v46, 0x3f116cb1, v55, -v46
	v_mul_f32_e32 v75, 0x3eedf032, v64
	v_add_f32_e32 v34, v34, v24
	v_add_f32_e32 v25, v36, v25
	v_fmamk_f32 v36, v69, 0xbf788fa5, v72
	v_fmamk_f32 v76, v71, 0xbe750f2a, v74
	v_mul_f32_e32 v77, 0x3f62ad3f, v39
	v_fmac_f32_e32 v66, 0x3f52af12, v65
	v_add_f32_e32 v24, v46, v33
	v_add_f32_e32 v33, v36, v34
	v_fmamk_f32 v34, v73, 0x3f62ad3f, v75
	v_add_f32_e32 v36, v76, v25
	v_fmamk_f32 v46, v52, 0xbeedf032, v77
	v_fma_f32 v60, 0x3df6dbef, v59, -v60
	v_add_f32_e32 v25, v66, v28
	v_add_f32_e32 v28, v34, v33
	v_fmac_f32_e32 v68, 0x3f7e222b, v62
	v_add_f32_e32 v33, v46, v36
	v_add_f32_e32 v23, v60, v23
	v_fma_f32 v34, 0x3f116cb1, v56, -v40
	v_mul_f32_e32 v36, 0xbf6f5d39, v54
	v_add_f32_e32 v22, v68, v22
	v_fmac_f32_e32 v70, 0xbf52af12, v67
	v_mul_f32_e32 v40, 0xbeb58ec6, v35
	v_add_f32_e32 v23, v34, v23
	v_fma_f32 v34, 0xbf788fa5, v69, -v72
	v_fmamk_f32 v46, v55, 0xbeb58ec6, v36
	v_add_f32_e32 v60, v70, v22
	v_fmac_f32_e32 v74, 0x3e750f2a, v71
	v_fmamk_f32 v66, v65, 0x3f6f5d39, v40
	v_add_f32_e32 v34, v34, v23
	v_fma_f32 v68, 0x3f62ad3f, v73, -v75
	v_add_f32_e32 v22, v46, v28
	v_mul_f32_e32 v46, 0x3eedf032, v58
	v_mul_f32_e32 v58, 0x3f62ad3f, v61
	v_add_f32_e32 v28, v74, v60
	v_fmac_f32_e32 v77, 0x3eedf032, v52
	v_add_f32_e32 v23, v66, v33
	v_add_f32_e32 v33, v68, v34
	v_fma_f32 v34, 0xbeb58ec6, v55, -v36
	v_fmamk_f32 v36, v59, 0x3f62ad3f, v46
	v_fmamk_f32 v60, v62, 0xbeedf032, v58
	v_mul_f32_e32 v61, 0xbf29c268, v63
	v_mul_f32_e32 v45, 0xbf3f9e67, v45
	v_add_f32_e32 v28, v77, v28
	v_fmac_f32_e32 v40, 0xbf6f5d39, v65
	v_add_f32_e32 v20, v36, v20
	v_add_f32_e32 v21, v60, v21
	v_fmamk_f32 v36, v56, 0xbf3f9e67, v61
	v_fmamk_f32 v60, v67, 0x3f29c268, v45
	v_mul_f32_e32 v57, 0x3f52af12, v57
	v_mul_f32_e32 v47, 0x3f116cb1, v47
	v_add_f32_e32 v33, v34, v33
	v_add_f32_e32 v34, v40, v28
	v_add_f32_e32 v20, v36, v20
	v_add_f32_e32 v21, v60, v21
	v_fmamk_f32 v28, v69, 0x3f116cb1, v57
	v_fmamk_f32 v36, v71, 0xbf52af12, v47
	v_mul_f32_e32 v40, 0xbf6f5d39, v64
	v_fma_f32 v46, 0x3f62ad3f, v59, -v46
	v_fmac_f32_e32 v58, 0x3eedf032, v62
	v_add_f32_e32 v20, v28, v20
	v_add_f32_e32 v21, v36, v21
	v_fmamk_f32 v28, v73, 0xbeb58ec6, v40
	v_add_f32_e32 v18, v46, v18
	v_fma_f32 v36, 0xbf3f9e67, v56, -v61
	v_add_f32_e32 v19, v58, v19
	v_fmac_f32_e32 v45, 0xbf29c268, v67
	v_add_f32_e32 v20, v28, v20
	v_mul_f32_e32 v28, 0xbeb58ec6, v39
	v_add_f32_e32 v18, v36, v18
	v_fma_f32 v36, 0x3f116cb1, v69, -v57
	v_add_f32_e32 v19, v45, v19
	v_fma_f32 v40, 0xbeb58ec6, v73, -v40
	v_fmamk_f32 v45, v52, 0x3f6f5d39, v28
	v_mul_f32_e32 v39, 0x3f7e222b, v54
	v_add_f32_e32 v36, v36, v18
	v_fmac_f32_e32 v47, 0x3f52af12, v71
	v_mul_f32_e32 v35, 0x3df6dbef, v35
	v_add_f32_e32 v21, v45, v21
	v_mov_b32_e32 v45, 3
	v_add_f32_e32 v36, v40, v36
	v_mov_b32_e32 v40, 0xa90
	v_fmamk_f32 v46, v55, 0x3df6dbef, v39
	v_add_f32_e32 v19, v47, v19
	v_fmac_f32_e32 v28, 0xbf6f5d39, v52
	v_lshlrev_b32_sdwa v45, v45, v110 dst_sel:DWORD dst_unused:UNUSED_PAD src0_sel:DWORD src1_sel:BYTE_0
	v_mul_u32_u24_sdwa v40, v109, v40 dst_sel:DWORD dst_unused:UNUSED_PAD src0_sel:WORD_0 src1_sel:DWORD
	v_add_f32_e32 v18, v46, v20
	v_fmamk_f32 v20, v65, 0xbf7e222b, v35
	v_add_f32_e32 v28, v28, v19
	v_fmac_f32_e32 v35, 0x3f7e222b, v65
	v_fma_f32 v39, 0x3df6dbef, v55, -v39
	v_add_f32_e32 v15, v80, v78
	ds_write2_b64 v53, v[6:7], v[10:11] offset0:104 offset1:130
	v_add3_u32 v6, 0, v40, v45
	v_add_f32_e32 v19, v20, v21
	v_add_f32_e32 v21, v35, v28
	v_add_nc_u32_e32 v28, 0x800, v53
	v_add_f32_e32 v20, v39, v36
	v_add_nc_u32_e32 v56, 0x1c00, v100
	ds_write2_b64 v53, v[14:15], v[16:17] offset0:156 offset1:182
	ds_write2_b64 v53, v[12:13], v[8:9] offset0:208 offset1:234
	;; [unrolled: 1-line block ×3, first 2 shown]
	ds_write_b64 v53, v[0:1] offset:2496
	ds_write2_b64 v6, v[41:42], v[37:38] offset1:26
	v_add_nc_u32_e32 v0, 0x800, v6
	ds_write2_b64 v6, v[43:44], v[31:32] offset0:52 offset1:78
	ds_write2_b64 v6, v[26:27], v[22:23] offset0:104 offset1:130
	;; [unrolled: 1-line block ×5, first 2 shown]
	ds_write_b64 v6, v[48:49] offset:2496
	s_waitcnt lgkmcnt(0)
	s_barrier
	buffer_gl0_inv
	ds_read2_b64 v[8:11], v100 offset1:52
	ds_read2_b64 v[44:47], v104 offset0:82 offset1:134
	ds_read2_b64 v[36:39], v97 offset0:164 offset1:216
	;; [unrolled: 1-line block ×11, first 2 shown]
                                        ; implicit-def: $vgpr53
                                        ; implicit-def: $vgpr55
	s_and_saveexec_b32 s1, s0
	s_cbranch_execz .LBB0_19
; %bb.18:
	ds_read_b64 v[50:51], v100 offset:2496
	ds_read_b64 v[48:49], v100 offset:5200
	;; [unrolled: 1-line block ×4, first 2 shown]
	v_mov_b32_e32 v108, v105
.LBB0_19:
	s_or_b32 exec_lo, exec_lo, s1
	v_mul_u32_u24_e32 v57, 3, v96
	v_lshlrev_b32_e32 v75, 3, v57
	v_add_co_u32 v71, s1, s8, v75
	v_add_co_ci_u32_e64 v72, null, s9, 0, s1
	v_add_co_u32 v61, s1, 0xa80, v71
	v_add_co_ci_u32_e64 v62, s1, 0, v72, s1
	v_add_co_u32 v63, s1, 0x800, v71
	v_add_co_ci_u32_e64 v64, s1, 0, v72, s1
	;; [unrolled: 2-line block ×5, first 2 shown]
	s_clause 0x5
	global_load_dwordx4 v[57:60], v[63:64], off offset:640
	global_load_dwordx2 v[81:82], v[61:62], off offset:16
	global_load_dwordx4 v[61:64], v[63:64], off offset:1888
	global_load_dwordx2 v[83:84], v[65:66], off offset:16
	;; [unrolled: 2-line block ×3, first 2 shown]
	v_add_co_u32 v69, s1, 0x1800, v71
	v_add_co_ci_u32_e64 v70, s1, 0, v72, s1
	v_add_co_u32 v73, s1, 0x1920, v71
	v_add_co_ci_u32_e64 v74, s1, 0, v72, s1
	s_clause 0x1
	global_load_dwordx4 v[69:72], v[69:70], off offset:288
	global_load_dwordx2 v[87:88], v[73:74], off offset:16
	v_add_nc_u32_e32 v73, 0x1380, v75
	v_add_nc_u32_e32 v74, 0x1860, v75
	v_add_co_u32 v73, s1, s8, v73
	v_add_co_ci_u32_e64 v75, null, s9, 0, s1
	v_add_co_u32 v91, s1, s8, v74
	v_add_co_ci_u32_e64 v92, null, s9, 0, s1
	v_add_co_u32 v77, s1, 0xa80, v73
	v_add_co_ci_u32_e64 v78, s1, 0, v75, s1
	v_add_co_u32 v73, s1, 0x800, v73
	v_add_co_ci_u32_e64 v74, s1, 0, v75, s1
	;; [unrolled: 2-line block ×4, first 2 shown]
	s_clause 0x3
	global_load_dwordx4 v[73:76], v[73:74], off offset:640
	global_load_dwordx2 v[89:90], v[77:78], off offset:16
	global_load_dwordx4 v[77:80], v[79:80], off offset:640
	global_load_dwordx2 v[91:92], v[91:92], off offset:16
	s_waitcnt vmcnt(0) lgkmcnt(0)
	s_barrier
	buffer_gl0_inv
	v_mul_f32_e32 v105, v62, v47
	v_mul_f32_e32 v93, v58, v45
	;; [unrolled: 1-line block ×24, first 2 shown]
	v_fmac_f32_e32 v93, v57, v44
	v_fma_f32 v44, v57, v45, -v58
	v_fmac_f32_e32 v94, v59, v36
	v_fma_f32 v36, v59, v37, -v60
	;; [unrolled: 2-line block ×12, first 2 shown]
	v_mul_f32_e32 v28, v13, v74
	v_mul_f32_e32 v22, v12, v74
	v_mul_f32_e32 v23, v41, v76
	v_mul_f32_e32 v27, v40, v76
	v_mul_f32_e32 v29, v33, v90
	v_mul_f32_e32 v30, v32, v90
	v_mul_f32_e32 v31, v15, v78
	v_mul_f32_e32 v38, v14, v78
	v_mul_f32_e32 v39, v43, v80
	v_mul_f32_e32 v45, v42, v80
	v_mul_f32_e32 v46, v35, v92
	v_mul_f32_e32 v47, v34, v92
	v_fmac_f32_e32 v28, v12, v73
	v_fma_f32 v57, v13, v73, -v22
	v_fmac_f32_e32 v23, v40, v75
	v_fma_f32 v12, v41, v75, -v27
	v_fmac_f32_e32 v29, v32, v89
	v_fma_f32 v13, v33, v89, -v30
	v_fmac_f32_e32 v31, v14, v77
	v_fma_f32 v30, v15, v77, -v38
	v_fmac_f32_e32 v39, v42, v79
	v_fma_f32 v14, v43, v79, -v45
	v_fmac_f32_e32 v46, v34, v91
	v_fma_f32 v15, v35, v91, -v47
	v_sub_f32_e32 v22, v8, v94
	v_sub_f32_e32 v27, v9, v36
	v_sub_f32_e32 v32, v93, v95
	v_sub_f32_e32 v24, v44, v24
	v_sub_f32_e32 v33, v10, v106
	v_sub_f32_e32 v34, v11, v37
	v_sub_f32_e32 v35, v105, v107
	v_sub_f32_e32 v26, v25, v26
	v_sub_f32_e32 v36, v4, v110
	v_sub_f32_e32 v37, v5, v17
	v_sub_f32_e32 v17, v109, v111
	v_sub_f32_e32 v20, v16, v20
	v_sub_f32_e32 v38, v6, v113
	v_sub_f32_e32 v40, v7, v19
	v_sub_f32_e32 v19, v112, v114
	v_sub_f32_e32 v21, v18, v21
	v_fma_f32 v41, v8, 2.0, -v22
	v_fma_f32 v42, v9, 2.0, -v27
	;; [unrolled: 1-line block ×4, first 2 shown]
	v_add_f32_e32 v8, v22, v24
	v_sub_f32_e32 v9, v27, v32
	v_fma_f32 v32, v10, 2.0, -v33
	v_fma_f32 v45, v11, 2.0, -v34
	;; [unrolled: 1-line block ×4, first 2 shown]
	v_add_f32_e32 v10, v33, v26
	v_sub_f32_e32 v11, v34, v35
	v_fma_f32 v35, v4, 2.0, -v36
	v_fma_f32 v47, v5, 2.0, -v37
	;; [unrolled: 1-line block ×3, first 2 shown]
	v_add_f32_e32 v4, v36, v20
	v_sub_f32_e32 v5, v37, v17
	v_fma_f32 v59, v6, 2.0, -v38
	v_fma_f32 v60, v7, 2.0, -v40
	v_add_f32_e32 v6, v38, v21
	v_sub_f32_e32 v7, v40, v19
	v_sub_f32_e32 v63, v0, v23
	;; [unrolled: 1-line block ×9, first 2 shown]
	v_fma_f32 v58, v16, 2.0, -v20
	v_fma_f32 v61, v112, 2.0, -v19
	v_fma_f32 v62, v18, 2.0, -v21
	v_sub_f32_e32 v12, v41, v43
	v_fma_f32 v14, v22, 2.0, -v8
	v_fma_f32 v15, v27, 2.0, -v9
	v_sub_f32_e32 v16, v32, v24
	v_fma_f32 v18, v33, 2.0, -v10
	v_fma_f32 v19, v34, 2.0, -v11
	;; [unrolled: 3-line block ×3, first 2 shown]
	v_fma_f32 v26, v38, 2.0, -v6
	v_fma_f32 v27, v40, 2.0, -v7
	;; [unrolled: 1-line block ×10, first 2 shown]
	v_sub_f32_e32 v13, v42, v44
	v_sub_f32_e32 v17, v45, v25
	;; [unrolled: 1-line block ×5, first 2 shown]
	v_add_f32_e32 v0, v63, v65
	v_sub_f32_e32 v1, v64, v29
	v_add_f32_e32 v2, v39, v67
	v_sub_f32_e32 v3, v66, v46
	ds_write2_b64 v56, v[8:9], v[10:11] offset0:118 offset1:170
	ds_write2_b64 v103, v[4:5], v[6:7] offset0:94 offset1:146
	v_fma_f32 v6, v32, 2.0, -v16
	v_sub_f32_e32 v28, v36, v28
	v_sub_f32_e32 v29, v37, v33
	;; [unrolled: 1-line block ×4, first 2 shown]
	v_fma_f32 v4, v41, 2.0, -v12
	v_fma_f32 v5, v42, 2.0, -v13
	;; [unrolled: 1-line block ×11, first 2 shown]
	ds_write2_b64 v104, v[14:15], v[18:19] offset0:82 offset1:134
	ds_write2_b64 v97, v[12:13], v[16:17] offset0:164 offset1:216
	;; [unrolled: 1-line block ×4, first 2 shown]
	v_fma_f32 v12, v36, 2.0, -v28
	v_fma_f32 v13, v37, 2.0, -v29
	;; [unrolled: 1-line block ×4, first 2 shown]
	ds_write2_b64 v100, v[4:5], v[6:7] offset1:52
	ds_write2_b64 v100, v[8:9], v[10:11] offset0:104 offset1:156
	ds_write2_b64 v97, v[30:31], v[34:35] offset0:34 offset1:86
	;; [unrolled: 1-line block ×5, first 2 shown]
	s_and_saveexec_b32 s1, s0
	s_cbranch_execz .LBB0_21
; %bb.20:
	v_mul_i32_i24_e32 v0, 3, v108
	v_mov_b32_e32 v1, 0
	v_lshlrev_b64 v[0:1], 3, v[0:1]
	v_add_co_u32 v2, s0, s8, v0
	v_add_co_ci_u32_e64 v3, s0, s9, v1, s0
	v_add_co_u32 v0, s0, 0x800, v2
	v_add_co_ci_u32_e64 v1, s0, 0, v3, s0
	;; [unrolled: 2-line block ×3, first 2 shown]
	s_clause 0x1
	global_load_dwordx4 v[0:3], v[0:1], off offset:640
	global_load_dwordx2 v[4:5], v[4:5], off offset:16
	s_waitcnt vmcnt(1)
	v_mul_f32_e32 v6, v52, v3
	v_mul_f32_e32 v7, v49, v1
	s_waitcnt vmcnt(0)
	v_mul_f32_e32 v8, v55, v5
	v_mul_f32_e32 v1, v48, v1
	;; [unrolled: 1-line block ×4, first 2 shown]
	v_fma_f32 v6, v53, v2, -v6
	v_fmac_f32_e32 v7, v48, v0
	v_fma_f32 v0, v49, v0, -v1
	v_fma_f32 v1, v55, v4, -v5
	v_fmac_f32_e32 v3, v52, v2
	v_fmac_f32_e32 v8, v54, v4
	v_sub_f32_e32 v4, v51, v6
	v_sub_f32_e32 v2, v0, v1
	;; [unrolled: 1-line block ×4, first 2 shown]
	v_fma_f32 v8, v51, 2.0, -v4
	v_fma_f32 v3, v0, 2.0, -v2
	;; [unrolled: 1-line block ×4, first 2 shown]
	v_sub_f32_e32 v1, v4, v1
	v_add_f32_e32 v0, v6, v2
	v_sub_f32_e32 v3, v8, v3
	v_sub_f32_e32 v2, v9, v5
	v_fma_f32 v5, v4, 2.0, -v1
	v_fma_f32 v4, v6, 2.0, -v0
	;; [unrolled: 1-line block ×4, first 2 shown]
	ds_write_b64 v100, v[4:5] offset:5200
	ds_write_b64 v100, v[2:3] offset:7904
	;; [unrolled: 1-line block ×4, first 2 shown]
.LBB0_21:
	s_or_b32 exec_lo, exec_lo, s1
	s_waitcnt lgkmcnt(0)
	s_barrier
	buffer_gl0_inv
	s_and_saveexec_b32 s0, vcc_lo
	s_cbranch_execz .LBB0_23
; %bb.22:
	v_lshl_add_u32 v20, v96, 3, 0
	v_mov_b32_e32 v97, 0
	v_add_nc_u32_e32 v8, 52, v96
	v_add_co_u32 v21, vcc_lo, s2, v98
	ds_read2_b64 v[0:3], v20 offset1:52
	v_lshlrev_b64 v[14:15], 3, v[96:97]
	v_mov_b32_e32 v9, v97
	v_add_co_ci_u32_e32 v22, vcc_lo, s3, v99, vcc_lo
	v_add_nc_u32_e32 v10, 0x68, v96
	v_mov_b32_e32 v11, v97
	v_lshlrev_b64 v[8:9], 3, v[8:9]
	v_add_co_u32 v14, vcc_lo, v21, v14
	v_add_nc_u32_e32 v18, 0x400, v20
	v_add_co_ci_u32_e32 v15, vcc_lo, v22, v15, vcc_lo
	ds_read2_b64 v[4:7], v20 offset0:104 offset1:156
	v_add_co_u32 v16, vcc_lo, v21, v8
	v_add_nc_u32_e32 v12, 0x9c, v96
	v_mov_b32_e32 v13, v97
	v_add_co_ci_u32_e32 v17, vcc_lo, v22, v9, vcc_lo
	s_waitcnt lgkmcnt(1)
	global_store_dwordx2 v[14:15], v[0:1], off
	v_lshlrev_b64 v[0:1], 3, v[10:11]
	ds_read2_b64 v[8:11], v18 offset0:80 offset1:132
	v_add_nc_u32_e32 v14, 0xd0, v96
	v_mov_b32_e32 v15, v97
	v_lshlrev_b64 v[12:13], 3, v[12:13]
	v_add_nc_u32_e32 v18, 0x104, v96
	v_add_co_u32 v0, vcc_lo, v21, v0
	v_lshlrev_b64 v[14:15], 3, v[14:15]
	v_add_co_ci_u32_e32 v1, vcc_lo, v22, v1, vcc_lo
	v_add_co_u32 v12, vcc_lo, v21, v12
	v_add_co_ci_u32_e32 v13, vcc_lo, v22, v13, vcc_lo
	v_mov_b32_e32 v19, v97
	v_add_co_u32 v14, vcc_lo, v21, v14
	v_add_co_ci_u32_e32 v15, vcc_lo, v22, v15, vcc_lo
	global_store_dwordx2 v[16:17], v[2:3], off
	s_waitcnt lgkmcnt(1)
	global_store_dwordx2 v[0:1], v[4:5], off
	global_store_dwordx2 v[12:13], v[6:7], off
	s_waitcnt lgkmcnt(0)
	global_store_dwordx2 v[14:15], v[8:9], off
	v_lshlrev_b64 v[0:1], 3, v[18:19]
	v_add_nc_u32_e32 v17, 0x800, v20
	v_add_nc_u32_e32 v4, 0x138, v96
	v_mov_b32_e32 v5, v97
	v_add_nc_u32_e32 v6, 0x16c, v96
	v_mov_b32_e32 v7, v97
	v_add_co_u32 v8, vcc_lo, v21, v0
	v_add_co_ci_u32_e32 v9, vcc_lo, v22, v1, vcc_lo
	ds_read2_b64 v[0:3], v17 offset0:56 offset1:108
	v_lshlrev_b64 v[12:13], 3, v[4:5]
	v_lshlrev_b64 v[14:15], 3, v[6:7]
	ds_read2_b64 v[4:7], v17 offset0:160 offset1:212
	v_add_nc_u32_e32 v16, 0x1a0, v96
	v_mov_b32_e32 v17, v97
	v_add_nc_u32_e32 v18, 0x1d4, v96
	v_add_co_u32 v12, vcc_lo, v21, v12
	v_add_co_ci_u32_e32 v13, vcc_lo, v22, v13, vcc_lo
	v_lshlrev_b64 v[16:17], 3, v[16:17]
	v_add_co_u32 v14, vcc_lo, v21, v14
	v_add_co_ci_u32_e32 v15, vcc_lo, v22, v15, vcc_lo
	v_add_nc_u32_e32 v23, 0x1800, v20
	v_add_co_u32 v16, vcc_lo, v21, v16
	v_add_co_ci_u32_e32 v17, vcc_lo, v22, v17, vcc_lo
	global_store_dwordx2 v[8:9], v[10:11], off
	s_waitcnt lgkmcnt(1)
	global_store_dwordx2 v[12:13], v[0:1], off
	global_store_dwordx2 v[14:15], v[2:3], off
	s_waitcnt lgkmcnt(0)
	global_store_dwordx2 v[16:17], v[4:5], off
	v_lshlrev_b64 v[0:1], 3, v[18:19]
	v_add_nc_u32_e32 v10, 0x1000, v20
	v_add_nc_u32_e32 v8, 0x23c, v96
	v_mov_b32_e32 v9, v97
	v_add_nc_u32_e32 v4, 0x208, v96
	v_mov_b32_e32 v5, v97
	v_add_co_u32 v12, vcc_lo, v21, v0
	v_add_co_ci_u32_e32 v13, vcc_lo, v22, v1, vcc_lo
	ds_read2_b64 v[0:3], v10 offset0:8 offset1:60
	v_lshlrev_b64 v[14:15], 3, v[8:9]
	ds_read2_b64 v[8:11], v10 offset0:112 offset1:164
	v_lshlrev_b64 v[4:5], 3, v[4:5]
	v_add_nc_u32_e32 v16, 0x270, v96
	v_mov_b32_e32 v17, v97
	v_add_nc_u32_e32 v18, 0x2a4, v96
	v_add_nc_u32_e32 v24, 0x2000, v20
	v_add_co_u32 v4, vcc_lo, v21, v4
	v_lshlrev_b64 v[16:17], 3, v[16:17]
	v_add_co_ci_u32_e32 v5, vcc_lo, v22, v5, vcc_lo
	v_add_co_u32 v14, vcc_lo, v21, v14
	v_add_co_ci_u32_e32 v15, vcc_lo, v22, v15, vcc_lo
	v_add_co_u32 v16, vcc_lo, v21, v16
	v_add_co_ci_u32_e32 v17, vcc_lo, v22, v17, vcc_lo
	global_store_dwordx2 v[12:13], v[6:7], off
	s_waitcnt lgkmcnt(1)
	global_store_dwordx2 v[4:5], v[0:1], off
	global_store_dwordx2 v[14:15], v[2:3], off
	s_waitcnt lgkmcnt(0)
	global_store_dwordx2 v[16:17], v[8:9], off
	v_lshlrev_b64 v[0:1], 3, v[18:19]
	v_add_nc_u32_e32 v2, 0x1400, v20
	v_add_nc_u32_e32 v4, 0x2d8, v96
	v_mov_b32_e32 v5, v97
	v_add_nc_u32_e32 v6, 0x30c, v96
	v_mov_b32_e32 v7, v97
	v_add_co_u32 v8, vcc_lo, v21, v0
	v_add_co_ci_u32_e32 v9, vcc_lo, v22, v1, vcc_lo
	ds_read2_b64 v[0:3], v2 offset0:88 offset1:140
	v_lshlrev_b64 v[12:13], 3, v[4:5]
	v_lshlrev_b64 v[14:15], 3, v[6:7]
	ds_read2_b64 v[4:7], v23 offset0:64 offset1:116
	v_add_nc_u32_e32 v16, 0x340, v96
	v_mov_b32_e32 v17, v97
	v_add_nc_u32_e32 v18, 0x374, v96
	v_add_co_u32 v12, vcc_lo, v21, v12
	v_add_co_ci_u32_e32 v13, vcc_lo, v22, v13, vcc_lo
	v_lshlrev_b64 v[16:17], 3, v[16:17]
	v_add_co_u32 v14, vcc_lo, v21, v14
	v_add_co_ci_u32_e32 v15, vcc_lo, v22, v15, vcc_lo
	v_add_co_u32 v16, vcc_lo, v21, v16
	v_add_co_ci_u32_e32 v17, vcc_lo, v22, v17, vcc_lo
	global_store_dwordx2 v[8:9], v[10:11], off
	s_waitcnt lgkmcnt(1)
	global_store_dwordx2 v[12:13], v[0:1], off
	global_store_dwordx2 v[14:15], v[2:3], off
	s_waitcnt lgkmcnt(0)
	global_store_dwordx2 v[16:17], v[4:5], off
	v_lshlrev_b64 v[0:1], 3, v[18:19]
	v_add_nc_u32_e32 v8, 0x3dc, v96
	v_mov_b32_e32 v9, v97
	v_add_nc_u32_e32 v4, 0x3a8, v96
	v_mov_b32_e32 v5, v97
	v_add_nc_u32_e32 v16, 0x410, v96
	v_add_co_u32 v12, vcc_lo, v21, v0
	v_add_co_ci_u32_e32 v13, vcc_lo, v22, v1, vcc_lo
	ds_read2_b64 v[0:3], v23 offset0:168 offset1:220
	v_lshlrev_b64 v[14:15], 3, v[8:9]
	ds_read2_b64 v[8:11], v24 offset0:16 offset1:68
	v_lshlrev_b64 v[4:5], 3, v[4:5]
	v_mov_b32_e32 v17, v97
	v_add_nc_u32_e32 v18, 0x444, v96
	v_add_co_u32 v4, vcc_lo, v21, v4
	v_lshlrev_b64 v[16:17], 3, v[16:17]
	v_add_co_ci_u32_e32 v5, vcc_lo, v22, v5, vcc_lo
	v_add_co_u32 v14, vcc_lo, v21, v14
	v_add_co_ci_u32_e32 v15, vcc_lo, v22, v15, vcc_lo
	v_add_co_u32 v16, vcc_lo, v21, v16
	v_add_co_ci_u32_e32 v17, vcc_lo, v22, v17, vcc_lo
	global_store_dwordx2 v[12:13], v[6:7], off
	s_waitcnt lgkmcnt(1)
	global_store_dwordx2 v[4:5], v[0:1], off
	global_store_dwordx2 v[14:15], v[2:3], off
	s_waitcnt lgkmcnt(0)
	global_store_dwordx2 v[16:17], v[8:9], off
	v_lshlrev_b64 v[0:1], 3, v[18:19]
	v_add_nc_u32_e32 v4, 0x478, v96
	v_mov_b32_e32 v5, v97
	v_add_nc_u32_e32 v6, 0x4ac, v96
	v_mov_b32_e32 v7, v97
	v_add_nc_u32_e32 v18, 0x2400, v20
	v_add_co_u32 v8, vcc_lo, v21, v0
	v_add_co_ci_u32_e32 v9, vcc_lo, v22, v1, vcc_lo
	ds_read2_b64 v[0:3], v24 offset0:120 offset1:172
	v_lshlrev_b64 v[12:13], 3, v[4:5]
	v_lshlrev_b64 v[14:15], 3, v[6:7]
	v_add_nc_u32_e32 v16, 0x4e0, v96
	v_mov_b32_e32 v17, v97
	ds_read2_b64 v[4:7], v18 offset0:96 offset1:148
	v_add_nc_u32_e32 v96, 0x514, v96
	v_add_co_u32 v12, vcc_lo, v21, v12
	v_lshlrev_b64 v[16:17], 3, v[16:17]
	v_add_co_ci_u32_e32 v13, vcc_lo, v22, v13, vcc_lo
	v_add_co_u32 v14, vcc_lo, v21, v14
	v_lshlrev_b64 v[18:19], 3, v[96:97]
	v_add_co_ci_u32_e32 v15, vcc_lo, v22, v15, vcc_lo
	v_add_co_u32 v16, vcc_lo, v21, v16
	v_add_co_ci_u32_e32 v17, vcc_lo, v22, v17, vcc_lo
	v_add_co_u32 v18, vcc_lo, v21, v18
	v_add_co_ci_u32_e32 v19, vcc_lo, v22, v19, vcc_lo
	global_store_dwordx2 v[8:9], v[10:11], off
	s_waitcnt lgkmcnt(1)
	global_store_dwordx2 v[12:13], v[0:1], off
	global_store_dwordx2 v[14:15], v[2:3], off
	s_waitcnt lgkmcnt(0)
	global_store_dwordx2 v[16:17], v[4:5], off
	global_store_dwordx2 v[18:19], v[6:7], off
.LBB0_23:
	s_endpgm
	.section	.rodata,"a",@progbits
	.p2align	6, 0x0
	.amdhsa_kernel fft_rtc_back_len1352_factors_2_13_13_4_wgs_52_tpt_52_halfLds_sp_ip_CI_unitstride_sbrr_C2R_dirReg
		.amdhsa_group_segment_fixed_size 0
		.amdhsa_private_segment_fixed_size 0
		.amdhsa_kernarg_size 88
		.amdhsa_user_sgpr_count 6
		.amdhsa_user_sgpr_private_segment_buffer 1
		.amdhsa_user_sgpr_dispatch_ptr 0
		.amdhsa_user_sgpr_queue_ptr 0
		.amdhsa_user_sgpr_kernarg_segment_ptr 1
		.amdhsa_user_sgpr_dispatch_id 0
		.amdhsa_user_sgpr_flat_scratch_init 0
		.amdhsa_user_sgpr_private_segment_size 0
		.amdhsa_wavefront_size32 1
		.amdhsa_uses_dynamic_stack 0
		.amdhsa_system_sgpr_private_segment_wavefront_offset 0
		.amdhsa_system_sgpr_workgroup_id_x 1
		.amdhsa_system_sgpr_workgroup_id_y 0
		.amdhsa_system_sgpr_workgroup_id_z 0
		.amdhsa_system_sgpr_workgroup_info 0
		.amdhsa_system_vgpr_workitem_id 0
		.amdhsa_next_free_vgpr 235
		.amdhsa_next_free_sgpr 21
		.amdhsa_reserve_vcc 1
		.amdhsa_reserve_flat_scratch 0
		.amdhsa_float_round_mode_32 0
		.amdhsa_float_round_mode_16_64 0
		.amdhsa_float_denorm_mode_32 3
		.amdhsa_float_denorm_mode_16_64 3
		.amdhsa_dx10_clamp 1
		.amdhsa_ieee_mode 1
		.amdhsa_fp16_overflow 0
		.amdhsa_workgroup_processor_mode 1
		.amdhsa_memory_ordered 1
		.amdhsa_forward_progress 0
		.amdhsa_shared_vgpr_count 0
		.amdhsa_exception_fp_ieee_invalid_op 0
		.amdhsa_exception_fp_denorm_src 0
		.amdhsa_exception_fp_ieee_div_zero 0
		.amdhsa_exception_fp_ieee_overflow 0
		.amdhsa_exception_fp_ieee_underflow 0
		.amdhsa_exception_fp_ieee_inexact 0
		.amdhsa_exception_int_div_zero 0
	.end_amdhsa_kernel
	.text
.Lfunc_end0:
	.size	fft_rtc_back_len1352_factors_2_13_13_4_wgs_52_tpt_52_halfLds_sp_ip_CI_unitstride_sbrr_C2R_dirReg, .Lfunc_end0-fft_rtc_back_len1352_factors_2_13_13_4_wgs_52_tpt_52_halfLds_sp_ip_CI_unitstride_sbrr_C2R_dirReg
                                        ; -- End function
	.section	.AMDGPU.csdata,"",@progbits
; Kernel info:
; codeLenInByte = 19908
; NumSgprs: 23
; NumVgprs: 235
; ScratchSize: 0
; MemoryBound: 0
; FloatMode: 240
; IeeeMode: 1
; LDSByteSize: 0 bytes/workgroup (compile time only)
; SGPRBlocks: 2
; VGPRBlocks: 29
; NumSGPRsForWavesPerEU: 23
; NumVGPRsForWavesPerEU: 235
; Occupancy: 4
; WaveLimiterHint : 1
; COMPUTE_PGM_RSRC2:SCRATCH_EN: 0
; COMPUTE_PGM_RSRC2:USER_SGPR: 6
; COMPUTE_PGM_RSRC2:TRAP_HANDLER: 0
; COMPUTE_PGM_RSRC2:TGID_X_EN: 1
; COMPUTE_PGM_RSRC2:TGID_Y_EN: 0
; COMPUTE_PGM_RSRC2:TGID_Z_EN: 0
; COMPUTE_PGM_RSRC2:TIDIG_COMP_CNT: 0
	.text
	.p2alignl 6, 3214868480
	.fill 48, 4, 3214868480
	.type	__hip_cuid_46407aab1be3311,@object ; @__hip_cuid_46407aab1be3311
	.section	.bss,"aw",@nobits
	.globl	__hip_cuid_46407aab1be3311
__hip_cuid_46407aab1be3311:
	.byte	0                               ; 0x0
	.size	__hip_cuid_46407aab1be3311, 1

	.ident	"AMD clang version 19.0.0git (https://github.com/RadeonOpenCompute/llvm-project roc-6.4.0 25133 c7fe45cf4b819c5991fe208aaa96edf142730f1d)"
	.section	".note.GNU-stack","",@progbits
	.addrsig
	.addrsig_sym __hip_cuid_46407aab1be3311
	.amdgpu_metadata
---
amdhsa.kernels:
  - .args:
      - .actual_access:  read_only
        .address_space:  global
        .offset:         0
        .size:           8
        .value_kind:     global_buffer
      - .offset:         8
        .size:           8
        .value_kind:     by_value
      - .actual_access:  read_only
        .address_space:  global
        .offset:         16
        .size:           8
        .value_kind:     global_buffer
      - .actual_access:  read_only
        .address_space:  global
        .offset:         24
        .size:           8
        .value_kind:     global_buffer
      - .offset:         32
        .size:           8
        .value_kind:     by_value
      - .actual_access:  read_only
        .address_space:  global
        .offset:         40
        .size:           8
        .value_kind:     global_buffer
      - .actual_access:  read_only
        .address_space:  global
        .offset:         48
        .size:           8
        .value_kind:     global_buffer
      - .offset:         56
        .size:           4
        .value_kind:     by_value
      - .actual_access:  read_only
        .address_space:  global
        .offset:         64
        .size:           8
        .value_kind:     global_buffer
      - .actual_access:  read_only
        .address_space:  global
        .offset:         72
        .size:           8
        .value_kind:     global_buffer
      - .address_space:  global
        .offset:         80
        .size:           8
        .value_kind:     global_buffer
    .group_segment_fixed_size: 0
    .kernarg_segment_align: 8
    .kernarg_segment_size: 88
    .language:       OpenCL C
    .language_version:
      - 2
      - 0
    .max_flat_workgroup_size: 52
    .name:           fft_rtc_back_len1352_factors_2_13_13_4_wgs_52_tpt_52_halfLds_sp_ip_CI_unitstride_sbrr_C2R_dirReg
    .private_segment_fixed_size: 0
    .sgpr_count:     23
    .sgpr_spill_count: 0
    .symbol:         fft_rtc_back_len1352_factors_2_13_13_4_wgs_52_tpt_52_halfLds_sp_ip_CI_unitstride_sbrr_C2R_dirReg.kd
    .uniform_work_group_size: 1
    .uses_dynamic_stack: false
    .vgpr_count:     235
    .vgpr_spill_count: 0
    .wavefront_size: 32
    .workgroup_processor_mode: 1
amdhsa.target:   amdgcn-amd-amdhsa--gfx1030
amdhsa.version:
  - 1
  - 2
...

	.end_amdgpu_metadata
